;; amdgpu-corpus repo=ROCm/rocBLAS kind=compiled arch=gfx906 opt=O3
	.amdgcn_target "amdgcn-amd-amdhsa--gfx906"
	.amdhsa_code_object_version 6
	.section	.text._ZL19rocblas_tbsv_kernelILb1ELi512EPKfPfEv18rocblas_operation_bbiiT1_lllT2_lll,"axG",@progbits,_ZL19rocblas_tbsv_kernelILb1ELi512EPKfPfEv18rocblas_operation_bbiiT1_lllT2_lll,comdat
	.globl	_ZL19rocblas_tbsv_kernelILb1ELi512EPKfPfEv18rocblas_operation_bbiiT1_lllT2_lll ; -- Begin function _ZL19rocblas_tbsv_kernelILb1ELi512EPKfPfEv18rocblas_operation_bbiiT1_lllT2_lll
	.p2align	8
	.type	_ZL19rocblas_tbsv_kernelILb1ELi512EPKfPfEv18rocblas_operation_bbiiT1_lllT2_lll,@function
_ZL19rocblas_tbsv_kernelILb1ELi512EPKfPfEv18rocblas_operation_bbiiT1_lllT2_lll: ; @_ZL19rocblas_tbsv_kernelILb1ELi512EPKfPfEv18rocblas_operation_bbiiT1_lllT2_lll
; %bb.0:
	s_load_dwordx2 s[0:1], s[4:5], 0x0
	s_load_dwordx4 s[24:27], s[4:5], 0x4
	s_load_dwordx16 s[8:23], s[4:5], 0x10
	s_waitcnt lgkmcnt(0)
	s_bitcmp1_b32 s1, 0
	s_cselect_b64 s[2:3], -1, 0
	s_xor_b64 s[36:37], s[2:3], -1
	s_bitcmp1_b32 s24, 8
	s_mul_i32 s1, s15, s6
	s_mul_hi_u32 s2, s14, s6
	s_cselect_b64 s[4:5], -1, 0
	s_add_i32 s15, s2, s1
	s_mul_i32 s14, s14, s6
	s_lshl_b64 s[28:29], s[14:15], 2
	s_add_u32 s1, s8, s28
	s_addc_u32 s2, s9, s29
	s_lshl_b64 s[30:31], s[10:11], 2
	s_add_u32 s34, s1, s30
	s_addc_u32 s35, s2, s31
	s_mul_i32 s1, s23, s6
	s_mul_hi_u32 s2, s22, s6
	s_add_i32 s3, s2, s1
	s_mul_i32 s2, s22, s6
	s_lshl_b64 s[2:3], s[2:3], 2
	s_add_u32 s1, s16, s2
	s_addc_u32 s6, s17, s3
	s_lshl_b64 s[2:3], s[18:19], 2
	s_add_u32 s24, s1, s2
	s_addc_u32 s33, s6, s3
	s_cmp_gt_i32 s25, 0
	s_cselect_b64 s[6:7], -1, 0
	s_cmpk_lg_i32 s0, 0x6f
	s_mov_b64 s[0:1], -1
	s_cbranch_scc0 .LBB0_109
; %bb.1:
	s_and_b64 vcc, exec, s[36:37]
	s_cbranch_vccz .LBB0_55
; %bb.2:
	s_andn2_b64 vcc, exec, s[6:7]
	s_cbranch_vccnz .LBB0_54
; %bb.3:
	s_add_i32 s40, s25, 0xfffffe00
	s_add_u32 s2, s28, s30
	s_addc_u32 s3, s29, s31
	s_ashr_i32 s1, s25, 31
	s_mov_b32 s0, s25
	s_lshl_b64 s[0:1], s[0:1], 2
	s_add_u32 s0, s2, s0
	s_addc_u32 s1, s3, s1
	s_add_u32 s0, s8, s0
	v_mov_b32_e32 v1, 0x1800
	s_addc_u32 s1, s9, s1
	v_lshl_or_b32 v7, v0, 2, v1
	s_add_u32 s16, s0, 0xfffff800
	v_add_u32_e32 v1, s25, v0
	v_sub_u32_e32 v8, 0, v0
	v_add_u32_e32 v9, 0xfffffe01, v0
	s_addc_u32 s17, s1, -1
	v_add_u32_e32 v10, 0xfffffc00, v1
	s_lshl_b64 s[18:19], s[12:13], 2
	v_mov_b32_e32 v11, s35
	s_xor_b64 s[22:23], s[4:5], -1
	v_mov_b32_e32 v2, 0
	s_mov_b32 s27, s25
	s_branch .LBB0_5
.LBB0_4:                                ;   in Loop: Header=BB0_5 Depth=1
	s_or_b64 exec, exec, s[38:39]
	s_addk_i32 s27, 0xfe00
	s_add_u32 s16, s16, 0xfffff800
	s_addc_u32 s17, s17, -1
	v_add_u32_e32 v10, 0xfffffe00, v10
	s_andn2_b64 vcc, exec, s[2:3]
	s_mov_b32 s40, s48
	s_waitcnt vmcnt(0)
	s_barrier
	s_cbranch_vccz .LBB0_54
.LBB0_5:                                ; =>This Loop Header: Depth=1
                                        ;     Child Loop BB0_10 Depth 2
                                        ;     Child Loop BB0_24 Depth 2
                                        ;       Child Loop BB0_27 Depth 3
	v_add_u32_e32 v12, s40, v0
	v_cmp_gt_i32_e32 vcc, 0, v12
	v_cmp_lt_i32_e64 s[0:1], -1, v12
	s_and_saveexec_b64 s[38:39], s[0:1]
	s_cbranch_execz .LBB0_7
; %bb.6:                                ;   in Loop: Header=BB0_5 Depth=1
	v_mad_u64_u32 v[3:4], s[2:3], s20, v12, 0
	v_mov_b32_e32 v1, v4
	v_mad_u64_u32 v[4:5], s[2:3], s21, v12, v[1:2]
	v_mov_b32_e32 v1, s33
	v_lshlrev_b64 v[3:4], 2, v[3:4]
	v_add_co_u32_e64 v3, s[2:3], s24, v3
	v_addc_co_u32_e64 v4, s[2:3], v1, v4, s[2:3]
	global_load_dword v1, v[3:4], off
	s_waitcnt vmcnt(0)
	ds_write_b32 v7, v1
.LBB0_7:                                ;   in Loop: Header=BB0_5 Depth=1
	s_or_b64 exec, exec, s[38:39]
	v_ashrrev_i32_e32 v1, 31, v12
	v_mul_lo_u32 v6, s13, v12
	v_mul_lo_u32 v1, s12, v1
	v_mad_u64_u32 v[4:5], s[2:3], s12, v12, 0
	v_add_u32_e32 v3, s26, v12
	s_movk_i32 s41, 0x1ff
	v_add3_u32 v5, v5, v1, v6
	v_lshlrev_b64 v[4:5], 2, v[4:5]
	s_mov_b32 s42, 0
	v_add_co_u32_e64 v4, s[2:3], s34, v4
	v_addc_co_u32_e64 v5, s[2:3], v11, v5, s[2:3]
	s_movk_i32 s43, 0x1ff8
	s_xor_b64 s[38:39], vcc, -1
	s_waitcnt lgkmcnt(0)
	s_barrier
	s_branch .LBB0_10
.LBB0_8:                                ;   in Loop: Header=BB0_10 Depth=2
	s_or_b64 exec, exec, s[2:3]
	s_add_i32 s41, s41, -2
	s_add_i32 s42, s42, -2
	;; [unrolled: 1-line block ×3, first 2 shown]
	s_cmp_eq_u32 s44, 0
	s_cselect_b64 s[2:3], -1, 0
.LBB0_9:                                ;   in Loop: Header=BB0_10 Depth=2
	s_and_b64 vcc, exec, s[2:3]
	s_cbranch_vccnz .LBB0_20
.LBB0_10:                               ;   Parent Loop BB0_5 Depth=1
                                        ; =>  This Inner Loop Header: Depth=2
	s_add_i32 s44, s27, s42
	s_add_i32 s45, s44, -1
	s_cmp_lt_i32 s45, 0
	s_mov_b64 s[2:3], -1
	s_cbranch_scc1 .LBB0_9
; %bb.11:                               ;   in Loop: Header=BB0_10 Depth=2
	v_cmp_eq_u32_e32 vcc, s42, v9
	s_and_b64 s[46:47], s[22:23], vcc
	s_and_saveexec_b64 s[2:3], s[46:47]
	s_cbranch_execz .LBB0_13
; %bb.12:                               ;   in Loop: Header=BB0_10 Depth=2
	s_mul_i32 s46, s13, s45
	s_mul_hi_u32 s47, s12, s45
	s_add_i32 s47, s47, s46
	s_mul_i32 s46, s12, s45
	s_lshl_b64 s[46:47], s[46:47], 2
	s_add_u32 s46, s34, s46
	s_addc_u32 s47, s35, s47
	global_load_dword v1, v2, s[46:47]
	ds_read_b32 v6, v7
	s_waitcnt vmcnt(0) lgkmcnt(0)
	v_div_scale_f32 v13, s[46:47], v1, v1, v6
	v_div_scale_f32 v14, vcc, v6, v1, v6
	v_rcp_f32_e32 v15, v13
	v_fma_f32 v16, -v13, v15, 1.0
	v_fmac_f32_e32 v15, v16, v15
	v_mul_f32_e32 v16, v14, v15
	v_fma_f32 v17, -v13, v16, v14
	v_fmac_f32_e32 v16, v17, v15
	v_fma_f32 v13, -v13, v16, v14
	v_div_fmas_f32 v13, v13, v15, v16
	v_div_fixup_f32 v1, v13, v1, v6
	ds_write_b32 v7, v1
.LBB0_13:                               ;   in Loop: Header=BB0_10 Depth=2
	s_or_b64 exec, exec, s[2:3]
	v_cmp_gt_u32_e32 vcc, s41, v0
	v_cmp_le_i32_e64 s[2:3], s45, v3
	s_and_b64 s[46:47], s[38:39], vcc
	s_and_b64 s[46:47], s[46:47], s[2:3]
	s_waitcnt lgkmcnt(0)
	s_barrier
	s_and_saveexec_b64 s[2:3], s[46:47]
	s_cbranch_execz .LBB0_15
; %bb.14:                               ;   in Loop: Header=BB0_10 Depth=2
	v_add_u32_e32 v1, s42, v8
	v_add_u32_e32 v1, 0x1ff, v1
	v_lshlrev_b64 v[13:14], 2, v[1:2]
	v_mov_b32_e32 v6, s43
	v_add_co_u32_e32 v13, vcc, v4, v13
	v_addc_co_u32_e32 v14, vcc, v5, v14, vcc
	global_load_dword v1, v[13:14], off
	ds_read_b32 v6, v6 offset:4
	ds_read_b32 v13, v7
	s_waitcnt vmcnt(0) lgkmcnt(0)
	v_fma_f32 v1, -v1, v6, v13
	ds_write_b32 v7, v1
.LBB0_15:                               ;   in Loop: Header=BB0_10 Depth=2
	s_or_b64 exec, exec, s[2:3]
	s_add_i32 s45, s44, -2
	s_cmp_lt_i32 s45, 0
	s_mov_b64 s[2:3], -1
	s_cbranch_scc1 .LBB0_9
; %bb.16:                               ;   in Loop: Header=BB0_10 Depth=2
	s_add_i32 s44, s41, -1
	v_cmp_eq_u32_e32 vcc, s44, v0
	s_and_b64 s[46:47], s[22:23], vcc
	s_and_saveexec_b64 s[2:3], s[46:47]
	s_cbranch_execz .LBB0_18
; %bb.17:                               ;   in Loop: Header=BB0_10 Depth=2
	s_mul_i32 s46, s13, s45
	s_mul_hi_u32 s47, s12, s45
	s_add_i32 s47, s47, s46
	s_mul_i32 s46, s12, s45
	s_lshl_b64 s[46:47], s[46:47], 2
	s_add_u32 s46, s34, s46
	s_addc_u32 s47, s35, s47
	global_load_dword v1, v2, s[46:47]
	ds_read_b32 v6, v7
	s_waitcnt vmcnt(0) lgkmcnt(0)
	v_div_scale_f32 v13, s[46:47], v1, v1, v6
	v_div_scale_f32 v14, vcc, v6, v1, v6
	v_rcp_f32_e32 v15, v13
	v_fma_f32 v16, -v13, v15, 1.0
	v_fmac_f32_e32 v15, v16, v15
	v_mul_f32_e32 v16, v14, v15
	v_fma_f32 v17, -v13, v16, v14
	v_fmac_f32_e32 v16, v17, v15
	v_fma_f32 v13, -v13, v16, v14
	v_div_fmas_f32 v13, v13, v15, v16
	v_div_fixup_f32 v1, v13, v1, v6
	ds_write_b32 v7, v1
.LBB0_18:                               ;   in Loop: Header=BB0_10 Depth=2
	s_or_b64 exec, exec, s[2:3]
	v_cmp_gt_u32_e32 vcc, s44, v0
	v_cmp_le_i32_e64 s[2:3], s45, v3
	s_and_b64 s[46:47], s[38:39], vcc
	s_and_b64 s[46:47], s[46:47], s[2:3]
	s_waitcnt lgkmcnt(0)
	s_barrier
	s_and_saveexec_b64 s[2:3], s[46:47]
	s_cbranch_execz .LBB0_8
; %bb.19:                               ;   in Loop: Header=BB0_10 Depth=2
	v_add_u32_e32 v1, s42, v8
	v_add_u32_e32 v1, 0x1fe, v1
	v_lshlrev_b64 v[13:14], 2, v[1:2]
	v_mov_b32_e32 v6, s43
	v_add_co_u32_e32 v13, vcc, v4, v13
	v_addc_co_u32_e32 v14, vcc, v5, v14, vcc
	global_load_dword v1, v[13:14], off
	ds_read_b32 v6, v6
	ds_read_b32 v13, v7
	s_waitcnt vmcnt(0) lgkmcnt(0)
	v_fma_f32 v1, -v1, v6, v13
	ds_write_b32 v7, v1
	s_branch .LBB0_8
.LBB0_20:                               ;   in Loop: Header=BB0_5 Depth=1
	s_add_i32 s48, s40, 0xfffffe00
	s_cmp_lt_i32 s40, 1
	s_cselect_b64 s[2:3], -1, 0
	s_and_b64 vcc, exec, s[2:3]
	s_waitcnt lgkmcnt(0)
	s_barrier
	s_cbranch_vccnz .LBB0_52
; %bb.21:                               ;   in Loop: Header=BB0_5 Depth=1
	v_mad_i64_i32 v[3:4], s[38:39], v10, -4, s[16:17]
	s_mov_b64 s[38:39], 0
	v_mov_b32_e32 v1, v10
	v_mov_b32_e32 v13, v0
	s_mov_b32 s49, s48
                                        ; implicit-def: $sgpr40_sgpr41
	s_branch .LBB0_24
.LBB0_22:                               ;   in Loop: Header=BB0_24 Depth=2
	v_mad_u64_u32 v[5:6], s[44:45], s20, v15, 0
	s_add_i32 s46, s49, 0xfffffe00
	s_cmp_lt_i32 s49, 1
	v_mad_u64_u32 v[15:16], s[44:45], s21, v15, v[6:7]
	v_mov_b32_e32 v16, s33
	s_cselect_b64 s[44:45], -1, 0
	v_mov_b32_e32 v6, v15
	v_lshlrev_b64 v[5:6], 2, v[5:6]
	s_andn2_b64 s[40:41], s[40:41], exec
	v_add_co_u32_e32 v5, vcc, s24, v5
	v_addc_co_u32_e32 v6, vcc, v16, v6, vcc
	global_load_dword v15, v[5:6], off
	v_add_co_u32_e32 v3, vcc, 0x800, v3
	s_and_b64 s[44:45], s[44:45], exec
	v_add_u32_e32 v1, 0xfffffe00, v1
	v_addc_co_u32_e32 v4, vcc, 0, v4, vcc
	s_or_b64 s[40:41], s[40:41], s[44:45]
	s_mov_b32 s49, s46
	s_waitcnt vmcnt(0)
	v_sub_f32_e32 v14, v15, v14
	global_store_dword v[5:6], v14, off
.LBB0_23:                               ;   in Loop: Header=BB0_24 Depth=2
	s_or_b64 exec, exec, s[42:43]
	s_and_b64 s[42:43], exec, s[40:41]
	s_or_b64 s[38:39], s[42:43], s[38:39]
	s_andn2_b64 exec, exec, s[38:39]
	s_cbranch_execz .LBB0_51
.LBB0_24:                               ;   Parent Loop BB0_5 Depth=1
                                        ; =>  This Loop Header: Depth=2
                                        ;       Child Loop BB0_27 Depth 3
	v_add_u32_e32 v15, s49, v0
	v_cmp_lt_i32_e32 vcc, -1, v15
	s_or_b64 s[40:41], s[40:41], exec
	s_and_saveexec_b64 s[42:43], vcc
	s_cbranch_execz .LBB0_23
; %bb.25:                               ;   in Loop: Header=BB0_24 Depth=2
	v_mad_u64_u32 v[5:6], s[44:45], s18, v1, v[3:4]
	v_add_u32_e32 v16, s26, v15
	v_add_u32_e32 v17, 0xfffffdfd, v13
	v_mad_u64_u32 v[20:21], s[44:45], s19, v1, v[6:7]
	v_add_u32_e32 v18, 0xfffffdfe, v13
	v_add_u32_e32 v19, 0xfffffdff, v13
	v_mov_b32_e32 v6, v20
	v_add_u32_e32 v13, 0xfffffe00, v13
	v_mov_b32_e32 v14, 0
	s_mov_b32 s50, 0
	s_movk_i32 s51, 0x1800
	s_branch .LBB0_27
.LBB0_26:                               ;   in Loop: Header=BB0_27 Depth=3
	s_or_b64 exec, exec, s[44:45]
	s_add_i32 s50, s50, 4
	s_add_i32 s51, s51, 16
	v_add_co_u32_e32 v5, vcc, 16, v5
	s_cmpk_eq_i32 s50, 0x200
	v_addc_co_u32_e32 v6, vcc, 0, v6, vcc
	s_cbranch_scc1 .LBB0_22
.LBB0_27:                               ;   Parent Loop BB0_5 Depth=1
                                        ;     Parent Loop BB0_24 Depth=2
                                        ; =>    This Inner Loop Header: Depth=3
	v_cmp_ne_u32_e32 vcc, s50, v13
	s_add_i32 s52, s27, s50
	s_or_b64 s[44:45], s[22:23], vcc
	s_and_saveexec_b64 s[46:47], s[44:45]
	s_xor_b64 s[44:45], exec, s[46:47]
	s_cbranch_execz .LBB0_31
; %bb.28:                               ;   in Loop: Header=BB0_27 Depth=3
	s_add_i32 s46, s52, 0xfffffe00
	v_cmp_le_i32_e32 vcc, s46, v16
	s_and_saveexec_b64 s[46:47], vcc
	s_cbranch_execz .LBB0_30
; %bb.29:                               ;   in Loop: Header=BB0_27 Depth=3
	global_load_dword v20, v[5:6], off
	v_mov_b32_e32 v21, s51
	ds_read_b32 v21, v21
	s_waitcnt vmcnt(0) lgkmcnt(0)
	v_fmac_f32_e32 v14, v20, v21
.LBB0_30:                               ;   in Loop: Header=BB0_27 Depth=3
	s_or_b64 exec, exec, s[46:47]
.LBB0_31:                               ;   in Loop: Header=BB0_27 Depth=3
	s_andn2_saveexec_b64 s[44:45], s[44:45]
	s_cbranch_execz .LBB0_33
; %bb.32:                               ;   in Loop: Header=BB0_27 Depth=3
	v_mov_b32_e32 v20, s51
	ds_read_b32 v20, v20
	s_waitcnt lgkmcnt(0)
	v_add_f32_e32 v14, v14, v20
.LBB0_33:                               ;   in Loop: Header=BB0_27 Depth=3
	s_or_b64 exec, exec, s[44:45]
	v_cmp_ne_u32_e32 vcc, s50, v19
	s_or_b64 s[44:45], s[22:23], vcc
	s_and_saveexec_b64 s[46:47], s[44:45]
	s_xor_b64 s[44:45], exec, s[46:47]
	s_cbranch_execz .LBB0_37
; %bb.34:                               ;   in Loop: Header=BB0_27 Depth=3
	s_add_i32 s46, s52, 0xfffffe01
	v_cmp_le_i32_e32 vcc, s46, v16
	s_and_saveexec_b64 s[46:47], vcc
	s_cbranch_execz .LBB0_36
; %bb.35:                               ;   in Loop: Header=BB0_27 Depth=3
	global_load_dword v20, v[5:6], off offset:4
	v_mov_b32_e32 v21, s51
	ds_read_b32 v21, v21 offset:4
	s_waitcnt vmcnt(0) lgkmcnt(0)
	v_fmac_f32_e32 v14, v20, v21
.LBB0_36:                               ;   in Loop: Header=BB0_27 Depth=3
	s_or_b64 exec, exec, s[46:47]
.LBB0_37:                               ;   in Loop: Header=BB0_27 Depth=3
	s_andn2_saveexec_b64 s[44:45], s[44:45]
	s_cbranch_execz .LBB0_39
; %bb.38:                               ;   in Loop: Header=BB0_27 Depth=3
	v_mov_b32_e32 v20, s51
	ds_read_b32 v20, v20 offset:4
	s_waitcnt lgkmcnt(0)
	v_add_f32_e32 v14, v14, v20
.LBB0_39:                               ;   in Loop: Header=BB0_27 Depth=3
	s_or_b64 exec, exec, s[44:45]
	v_cmp_ne_u32_e32 vcc, s50, v18
	s_or_b64 s[44:45], s[22:23], vcc
	s_and_saveexec_b64 s[46:47], s[44:45]
	s_xor_b64 s[44:45], exec, s[46:47]
	s_cbranch_execz .LBB0_43
; %bb.40:                               ;   in Loop: Header=BB0_27 Depth=3
	s_add_i32 s46, s52, 0xfffffe02
	v_cmp_le_i32_e32 vcc, s46, v16
	s_and_saveexec_b64 s[46:47], vcc
	s_cbranch_execz .LBB0_42
; %bb.41:                               ;   in Loop: Header=BB0_27 Depth=3
	global_load_dword v20, v[5:6], off offset:8
	v_mov_b32_e32 v21, s51
	ds_read_b32 v21, v21 offset:8
	s_waitcnt vmcnt(0) lgkmcnt(0)
	v_fmac_f32_e32 v14, v20, v21
.LBB0_42:                               ;   in Loop: Header=BB0_27 Depth=3
	s_or_b64 exec, exec, s[46:47]
.LBB0_43:                               ;   in Loop: Header=BB0_27 Depth=3
	s_andn2_saveexec_b64 s[44:45], s[44:45]
	s_cbranch_execz .LBB0_45
; %bb.44:                               ;   in Loop: Header=BB0_27 Depth=3
	v_mov_b32_e32 v20, s51
	ds_read_b32 v20, v20 offset:8
	s_waitcnt lgkmcnt(0)
	v_add_f32_e32 v14, v14, v20
.LBB0_45:                               ;   in Loop: Header=BB0_27 Depth=3
	s_or_b64 exec, exec, s[44:45]
	v_cmp_ne_u32_e32 vcc, s50, v17
	s_or_b64 s[44:45], s[22:23], vcc
	s_and_saveexec_b64 s[46:47], s[44:45]
	s_xor_b64 s[44:45], exec, s[46:47]
	s_cbranch_execz .LBB0_49
; %bb.46:                               ;   in Loop: Header=BB0_27 Depth=3
	s_addk_i32 s52, 0xfe03
	v_cmp_le_i32_e32 vcc, s52, v16
	s_and_saveexec_b64 s[46:47], vcc
	s_cbranch_execz .LBB0_48
; %bb.47:                               ;   in Loop: Header=BB0_27 Depth=3
	global_load_dword v20, v[5:6], off offset:12
	v_mov_b32_e32 v21, s51
	ds_read_b32 v21, v21 offset:12
	s_waitcnt vmcnt(0) lgkmcnt(0)
	v_fmac_f32_e32 v14, v20, v21
.LBB0_48:                               ;   in Loop: Header=BB0_27 Depth=3
	s_or_b64 exec, exec, s[46:47]
.LBB0_49:                               ;   in Loop: Header=BB0_27 Depth=3
	s_andn2_saveexec_b64 s[44:45], s[44:45]
	s_cbranch_execz .LBB0_26
; %bb.50:                               ;   in Loop: Header=BB0_27 Depth=3
	v_mov_b32_e32 v20, s51
	ds_read_b32 v20, v20 offset:12
	s_waitcnt lgkmcnt(0)
	v_add_f32_e32 v14, v14, v20
	s_branch .LBB0_26
.LBB0_51:                               ;   in Loop: Header=BB0_5 Depth=1
	s_or_b64 exec, exec, s[38:39]
.LBB0_52:                               ;   in Loop: Header=BB0_5 Depth=1
	s_and_saveexec_b64 s[38:39], s[0:1]
	s_cbranch_execz .LBB0_4
; %bb.53:                               ;   in Loop: Header=BB0_5 Depth=1
	v_mad_u64_u32 v[3:4], s[0:1], s20, v12, 0
	v_mov_b32_e32 v1, v4
	v_mad_u64_u32 v[4:5], s[0:1], s21, v12, v[1:2]
	ds_read_b32 v1, v7
	v_mov_b32_e32 v5, s33
	v_lshlrev_b64 v[3:4], 2, v[3:4]
	v_add_co_u32_e32 v3, vcc, s24, v3
	v_addc_co_u32_e32 v4, vcc, v5, v4, vcc
	s_waitcnt lgkmcnt(0)
	global_store_dword v[3:4], v1, off
	s_branch .LBB0_4
.LBB0_54:
	s_mov_b64 s[0:1], 0
.LBB0_55:
	s_andn2_b64 vcc, exec, s[0:1]
	s_cbranch_vccnz .LBB0_108
; %bb.56:
	s_andn2_b64 vcc, exec, s[6:7]
	s_cbranch_vccnz .LBB0_108
; %bb.57:
	s_ashr_i32 s27, s26, 31
	s_lshl_b64 s[0:1], s[12:13], 2
	s_lshl_b64 s[2:3], s[26:27], 2
	s_add_u32 s38, s28, s2
	s_addc_u32 s39, s29, s3
	s_add_u32 s16, s38, s0
	s_addc_u32 s17, s39, s1
	s_add_u32 s16, s8, s16
	s_addc_u32 s17, s9, s17
	s_lshl_b64 s[18:19], s[12:13], 11
	s_lshl_b64 s[22:23], s[12:13], 3
	s_add_u32 s27, s18, 0x800
	s_addc_u32 s42, s19, 0
	s_add_u32 s40, s0, -4
	s_addc_u32 s41, s1, -1
	s_add_u32 s2, s8, s2
	s_addc_u32 s3, s9, s3
	s_add_u32 s0, s2, s28
	v_mov_b32_e32 v1, 0x800
	s_addc_u32 s1, s3, s29
	v_lshl_or_b32 v9, v0, 2, v1
	v_mov_b32_e32 v2, s1
	v_mov_b32_e32 v1, s0
	v_or_b32_e32 v10, 0x200, v0
	v_mad_u64_u32 v[1:2], s[0:1], s40, v0, v[1:2]
	v_mad_u64_u32 v[3:4], s[0:1], s12, v10, 0
	s_add_u32 s38, s8, s38
	s_addc_u32 s39, s9, s39
	v_mad_u64_u32 v[5:6], s[0:1], s41, v0, v[2:3]
	v_mov_b32_e32 v2, v4
	v_mad_u64_u32 v[6:7], s[0:1], s13, v10, v[2:3]
	s_add_u32 s0, s2, s30
	s_addc_u32 s1, s3, s31
	v_mov_b32_e32 v4, v6
	v_lshlrev_b64 v[3:4], 2, v[3:4]
	s_add_u32 s0, s0, s28
	s_addc_u32 s1, s1, s29
	v_mov_b32_e32 v2, v5
	v_mov_b32_e32 v5, s1
	v_add_co_u32_e32 v3, vcc, s0, v3
	s_add_u32 s52, s18, 0xfffff800
	v_addc_co_u32_e32 v4, vcc, v5, v4, vcc
	s_addc_u32 s53, s19, -1
	s_mov_b32 s54, 0
	v_mov_b32_e32 v11, 0
	s_xor_b64 s[40:41], s[4:5], -1
	v_mov_b32_e32 v12, s19
	v_mov_b32_e32 v13, s42
	s_branch .LBB0_59
.LBB0_58:                               ;   in Loop: Header=BB0_59 Depth=1
	s_or_b64 exec, exec, s[42:43]
	v_add_co_u32_e32 v1, vcc, s18, v1
	s_add_u32 s16, s16, s18
	v_addc_co_u32_e32 v2, vcc, v2, v12, vcc
	s_addc_u32 s17, s17, s19
	v_add_co_u32_e32 v3, vcc, s27, v3
	s_add_u32 s38, s38, s18
	v_addc_co_u32_e32 v4, vcc, v4, v13, vcc
	s_addc_u32 s39, s39, s19
	v_add_u32_e32 v10, 0x200, v10
	s_and_b64 vcc, exec, s[2:3]
	s_mov_b32 s54, s55
	s_waitcnt vmcnt(0)
	s_barrier
	s_cbranch_vccnz .LBB0_108
.LBB0_59:                               ; =>This Loop Header: Depth=1
                                        ;     Child Loop BB0_63 Depth 2
                                        ;     Child Loop BB0_78 Depth 2
                                        ;       Child Loop BB0_81 Depth 3
	v_add_u32_e32 v14, s54, v0
	v_cmp_le_i32_e32 vcc, s25, v14
	v_cmp_gt_i32_e64 s[0:1], s25, v14
	s_and_saveexec_b64 s[42:43], s[0:1]
	s_cbranch_execz .LBB0_61
; %bb.60:                               ;   in Loop: Header=BB0_59 Depth=1
	v_mad_u64_u32 v[5:6], s[2:3], s20, v14, 0
	v_mad_u64_u32 v[6:7], s[2:3], s21, v14, v[6:7]
	v_mov_b32_e32 v7, s33
	v_lshlrev_b64 v[5:6], 2, v[5:6]
	v_add_co_u32_e64 v5, s[2:3], s24, v5
	v_addc_co_u32_e64 v6, s[2:3], v7, v6, s[2:3]
	global_load_dword v5, v[5:6], off
	s_waitcnt vmcnt(0)
	ds_write_b32 v9, v5
.LBB0_61:                               ;   in Loop: Header=BB0_59 Depth=1
	s_or_b64 exec, exec, s[42:43]
	v_mov_b32_e32 v6, v2
	v_subrev_u32_e32 v7, s26, v14
	s_mov_b32 s49, 0
	s_movk_i32 s48, 0x800
	s_xor_b64 s[42:43], vcc, -1
	s_mov_b64 s[46:47], s[38:39]
	v_mov_b32_e32 v5, v1
	s_mov_b64 s[44:45], s[16:17]
	s_waitcnt lgkmcnt(0)
	s_barrier
	s_branch .LBB0_63
.LBB0_62:                               ;   in Loop: Header=BB0_63 Depth=2
                                        ; implicit-def: $sgpr49
                                        ; implicit-def: $sgpr48
                                        ; implicit-def: $sgpr44_sgpr45
                                        ; implicit-def: $vgpr5_vgpr6
                                        ; implicit-def: $sgpr46_sgpr47
	s_cbranch_execnz .LBB0_74
.LBB0_63:                               ;   Parent Loop BB0_59 Depth=1
                                        ; =>  This Inner Loop Header: Depth=2
	s_add_i32 s50, s54, s49
	s_cmp_ge_i32 s50, s25
	s_cbranch_scc1 .LBB0_62
; %bb.64:                               ;   in Loop: Header=BB0_63 Depth=2
	v_cmp_eq_u32_e32 vcc, s49, v0
	s_and_b64 s[56:57], s[40:41], vcc
	s_and_saveexec_b64 s[2:3], s[56:57]
	s_cbranch_execz .LBB0_66
; %bb.65:                               ;   in Loop: Header=BB0_63 Depth=2
	s_add_u32 s56, s46, s30
	s_addc_u32 s57, s47, s31
	global_load_dword v8, v11, s[56:57]
	ds_read_b32 v15, v9
	s_waitcnt vmcnt(0) lgkmcnt(0)
	v_div_scale_f32 v16, s[56:57], v8, v8, v15
	v_div_scale_f32 v17, vcc, v15, v8, v15
	v_rcp_f32_e32 v18, v16
	v_fma_f32 v19, -v16, v18, 1.0
	v_fmac_f32_e32 v18, v19, v18
	v_mul_f32_e32 v19, v17, v18
	v_fma_f32 v20, -v16, v19, v17
	v_fmac_f32_e32 v19, v20, v18
	v_fma_f32 v16, -v16, v19, v17
	v_div_fmas_f32 v16, v16, v18, v19
	v_div_fixup_f32 v8, v16, v8, v15
	ds_write_b32 v9, v8
.LBB0_66:                               ;   in Loop: Header=BB0_63 Depth=2
	s_or_b64 exec, exec, s[2:3]
	v_cmp_lt_u32_e32 vcc, s49, v0
	v_cmp_ge_i32_e64 s[2:3], s50, v7
	s_and_b64 s[56:57], s[42:43], vcc
	s_and_b64 s[56:57], s[56:57], s[2:3]
	s_waitcnt lgkmcnt(0)
	s_barrier
	s_and_saveexec_b64 s[2:3], s[56:57]
	s_cbranch_execz .LBB0_68
; %bb.67:                               ;   in Loop: Header=BB0_63 Depth=2
	v_mov_b32_e32 v8, s31
	v_add_co_u32_e32 v15, vcc, s30, v5
	v_addc_co_u32_e32 v16, vcc, v6, v8, vcc
	global_load_dword v8, v[15:16], off
	v_mov_b32_e32 v15, s48
	ds_read_b32 v15, v15
	ds_read_b32 v16, v9
	s_waitcnt vmcnt(0) lgkmcnt(0)
	v_fma_f32 v8, -v8, v15, v16
	ds_write_b32 v9, v8
.LBB0_68:                               ;   in Loop: Header=BB0_63 Depth=2
	s_or_b64 exec, exec, s[2:3]
	s_add_i32 s50, s50, 1
	s_cmp_ge_i32 s50, s25
	s_cbranch_scc1 .LBB0_62
; %bb.69:                               ;   in Loop: Header=BB0_63 Depth=2
	s_add_i32 s49, s49, 1
	v_cmp_eq_u32_e32 vcc, s49, v0
	s_and_b64 s[56:57], s[40:41], vcc
	s_and_saveexec_b64 s[2:3], s[56:57]
	s_cbranch_execz .LBB0_71
; %bb.70:                               ;   in Loop: Header=BB0_63 Depth=2
	s_add_u32 s56, s44, s30
	s_addc_u32 s57, s45, s31
	global_load_dword v8, v11, s[56:57]
	ds_read_b32 v15, v9
	s_waitcnt vmcnt(0) lgkmcnt(0)
	v_div_scale_f32 v16, s[56:57], v8, v8, v15
	v_div_scale_f32 v17, vcc, v15, v8, v15
	v_rcp_f32_e32 v18, v16
	v_fma_f32 v19, -v16, v18, 1.0
	v_fmac_f32_e32 v18, v19, v18
	v_mul_f32_e32 v19, v17, v18
	v_fma_f32 v20, -v16, v19, v17
	v_fmac_f32_e32 v19, v20, v18
	v_fma_f32 v16, -v16, v19, v17
	v_div_fmas_f32 v16, v16, v18, v19
	v_div_fixup_f32 v8, v16, v8, v15
	ds_write_b32 v9, v8
.LBB0_71:                               ;   in Loop: Header=BB0_63 Depth=2
	s_or_b64 exec, exec, s[2:3]
	v_cmp_lt_u32_e32 vcc, s49, v0
	v_cmp_ge_i32_e64 s[2:3], s50, v7
	s_and_b64 s[50:51], s[42:43], vcc
	s_and_b64 s[50:51], s[50:51], s[2:3]
	s_waitcnt lgkmcnt(0)
	s_barrier
	s_and_saveexec_b64 s[2:3], s[50:51]
	s_cbranch_execz .LBB0_73
; %bb.72:                               ;   in Loop: Header=BB0_63 Depth=2
	v_mov_b32_e32 v8, s31
	v_add_co_u32_e32 v15, vcc, s30, v5
	v_addc_co_u32_e32 v16, vcc, v6, v8, vcc
	global_load_dword v8, v[15:16], off offset:4
	v_mov_b32_e32 v15, s48
	ds_read_b32 v15, v15 offset:4
	ds_read_b32 v16, v9
	s_waitcnt vmcnt(0) lgkmcnt(0)
	v_fma_f32 v8, -v8, v15, v16
	ds_write_b32 v9, v8
.LBB0_73:                               ;   in Loop: Header=BB0_63 Depth=2
	s_or_b64 exec, exec, s[2:3]
	s_add_i32 s48, s48, 8
	s_add_u32 s44, s44, s22
	s_addc_u32 s45, s45, s23
	s_add_u32 s46, s46, s22
	s_addc_u32 s47, s47, s23
	s_add_i32 s49, s49, 1
	v_add_co_u32_e32 v5, vcc, 8, v5
	s_cmpk_eq_i32 s49, 0x200
	v_addc_co_u32_e32 v6, vcc, 0, v6, vcc
	s_cselect_b64 s[2:3], -1, 0
	s_and_b64 vcc, exec, s[2:3]
	s_cbranch_vccz .LBB0_63
.LBB0_74:                               ;   in Loop: Header=BB0_59 Depth=1
	s_add_i32 s55, s54, 0x200
	s_cmp_ge_i32 s55, s25
	s_cselect_b64 s[2:3], -1, 0
	s_and_b64 vcc, exec, s[2:3]
	s_waitcnt lgkmcnt(0)
	s_barrier
	s_cbranch_vccnz .LBB0_106
; %bb.75:                               ;   in Loop: Header=BB0_59 Depth=1
	v_mad_i64_i32 v[5:6], s[42:43], v10, -4, v[3:4]
	s_mov_b64 s[42:43], 0
	v_mov_b32_e32 v15, v0
	s_mov_b32 s56, s55
                                        ; implicit-def: $sgpr44_sgpr45
	s_branch .LBB0_78
.LBB0_76:                               ;   in Loop: Header=BB0_78 Depth=2
	v_mad_u64_u32 v[7:8], s[48:49], s20, v17, 0
	s_addk_i32 s56, 0x200
	s_cmp_ge_i32 s56, s25
	v_mad_u64_u32 v[17:18], s[48:49], s21, v17, v[8:9]
	v_mov_b32_e32 v18, s33
	s_cselect_b64 s[48:49], -1, 0
	v_mov_b32_e32 v8, v17
	v_lshlrev_b64 v[7:8], 2, v[7:8]
	s_andn2_b64 s[44:45], s[44:45], exec
	v_add_co_u32_e32 v7, vcc, s24, v7
	v_addc_co_u32_e32 v8, vcc, v18, v8, vcc
	global_load_dword v17, v[7:8], off
	v_mov_b32_e32 v18, s53
	v_add_co_u32_e32 v5, vcc, s52, v5
	s_and_b64 s[48:49], s[48:49], exec
	v_addc_co_u32_e32 v6, vcc, v6, v18, vcc
	s_or_b64 s[44:45], s[44:45], s[48:49]
	s_waitcnt vmcnt(0)
	v_sub_f32_e32 v16, v17, v16
	global_store_dword v[7:8], v16, off
.LBB0_77:                               ;   in Loop: Header=BB0_78 Depth=2
	s_or_b64 exec, exec, s[46:47]
	s_and_b64 s[46:47], exec, s[44:45]
	s_or_b64 s[42:43], s[46:47], s[42:43]
	s_andn2_b64 exec, exec, s[42:43]
	s_cbranch_execz .LBB0_105
.LBB0_78:                               ;   Parent Loop BB0_59 Depth=1
                                        ; =>  This Loop Header: Depth=2
                                        ;       Child Loop BB0_81 Depth 3
	v_add_u32_e32 v17, s56, v0
	v_cmp_gt_i32_e32 vcc, s25, v17
	s_or_b64 s[44:45], s[44:45], exec
	s_and_saveexec_b64 s[46:47], vcc
	s_cbranch_execz .LBB0_77
; %bb.79:                               ;   in Loop: Header=BB0_78 Depth=2
	v_mov_b32_e32 v8, v6
	v_subrev_u32_e32 v18, s26, v17
	v_add_u32_e32 v19, 0x1fd, v15
	v_add_u32_e32 v20, 0x1fe, v15
	;; [unrolled: 1-line block ×4, first 2 shown]
	v_mov_b32_e32 v16, 0
	s_mov_b32 s57, 0
	s_movk_i32 s58, 0x800
	v_mov_b32_e32 v7, v5
	s_branch .LBB0_81
.LBB0_80:                               ;   in Loop: Header=BB0_81 Depth=3
	s_or_b64 exec, exec, s[48:49]
	s_add_i32 s57, s57, 4
	s_add_i32 s58, s58, 16
	v_add_co_u32_e32 v7, vcc, 16, v7
	s_cmpk_eq_i32 s57, 0x200
	v_addc_co_u32_e32 v8, vcc, 0, v8, vcc
	s_cbranch_scc1 .LBB0_76
.LBB0_81:                               ;   Parent Loop BB0_59 Depth=1
                                        ;     Parent Loop BB0_78 Depth=2
                                        ; =>    This Inner Loop Header: Depth=3
	v_cmp_ne_u32_e32 vcc, s57, v15
	s_add_i32 s59, s54, s57
	s_or_b64 s[48:49], s[40:41], vcc
	s_and_saveexec_b64 s[50:51], s[48:49]
	s_xor_b64 s[48:49], exec, s[50:51]
	s_cbranch_execz .LBB0_85
; %bb.82:                               ;   in Loop: Header=BB0_81 Depth=3
	s_cmp_lt_i32 s59, s25
	s_cselect_b64 s[50:51], -1, 0
	v_cmp_ge_i32_e32 vcc, s59, v18
	s_and_b64 s[60:61], s[50:51], vcc
	s_and_saveexec_b64 s[50:51], s[60:61]
	s_cbranch_execz .LBB0_84
; %bb.83:                               ;   in Loop: Header=BB0_81 Depth=3
	global_load_dword v22, v[7:8], off
	v_mov_b32_e32 v23, s58
	ds_read_b32 v23, v23
	s_waitcnt vmcnt(0) lgkmcnt(0)
	v_fmac_f32_e32 v16, v22, v23
.LBB0_84:                               ;   in Loop: Header=BB0_81 Depth=3
	s_or_b64 exec, exec, s[50:51]
.LBB0_85:                               ;   in Loop: Header=BB0_81 Depth=3
	s_andn2_saveexec_b64 s[48:49], s[48:49]
	s_cbranch_execz .LBB0_87
; %bb.86:                               ;   in Loop: Header=BB0_81 Depth=3
	v_mov_b32_e32 v22, s58
	ds_read_b32 v22, v22
	s_waitcnt lgkmcnt(0)
	v_add_f32_e32 v16, v16, v22
.LBB0_87:                               ;   in Loop: Header=BB0_81 Depth=3
	s_or_b64 exec, exec, s[48:49]
	v_cmp_ne_u32_e32 vcc, s57, v21
	s_or_b64 s[48:49], s[40:41], vcc
	s_and_saveexec_b64 s[50:51], s[48:49]
	s_xor_b64 s[48:49], exec, s[50:51]
	s_cbranch_execz .LBB0_91
; %bb.88:                               ;   in Loop: Header=BB0_81 Depth=3
	s_add_i32 s60, s59, 1
	s_cmp_lt_i32 s60, s25
	s_cselect_b64 s[50:51], -1, 0
	v_cmp_ge_i32_e32 vcc, s60, v18
	s_and_b64 s[60:61], s[50:51], vcc
	s_and_saveexec_b64 s[50:51], s[60:61]
	s_cbranch_execz .LBB0_90
; %bb.89:                               ;   in Loop: Header=BB0_81 Depth=3
	global_load_dword v22, v[7:8], off offset:4
	v_mov_b32_e32 v23, s58
	ds_read_b32 v23, v23 offset:4
	s_waitcnt vmcnt(0) lgkmcnt(0)
	v_fmac_f32_e32 v16, v22, v23
.LBB0_90:                               ;   in Loop: Header=BB0_81 Depth=3
	s_or_b64 exec, exec, s[50:51]
.LBB0_91:                               ;   in Loop: Header=BB0_81 Depth=3
	s_andn2_saveexec_b64 s[48:49], s[48:49]
	s_cbranch_execz .LBB0_93
; %bb.92:                               ;   in Loop: Header=BB0_81 Depth=3
	v_mov_b32_e32 v22, s58
	ds_read_b32 v22, v22 offset:4
	s_waitcnt lgkmcnt(0)
	v_add_f32_e32 v16, v16, v22
.LBB0_93:                               ;   in Loop: Header=BB0_81 Depth=3
	s_or_b64 exec, exec, s[48:49]
	v_cmp_ne_u32_e32 vcc, s57, v20
	s_or_b64 s[48:49], s[40:41], vcc
	s_and_saveexec_b64 s[50:51], s[48:49]
	s_xor_b64 s[48:49], exec, s[50:51]
	s_cbranch_execz .LBB0_97
; %bb.94:                               ;   in Loop: Header=BB0_81 Depth=3
	s_add_i32 s60, s59, 2
	s_cmp_lt_i32 s60, s25
	s_cselect_b64 s[50:51], -1, 0
	v_cmp_ge_i32_e32 vcc, s60, v18
	s_and_b64 s[60:61], s[50:51], vcc
	s_and_saveexec_b64 s[50:51], s[60:61]
	s_cbranch_execz .LBB0_96
; %bb.95:                               ;   in Loop: Header=BB0_81 Depth=3
	global_load_dword v22, v[7:8], off offset:8
	v_mov_b32_e32 v23, s58
	ds_read_b32 v23, v23 offset:8
	s_waitcnt vmcnt(0) lgkmcnt(0)
	v_fmac_f32_e32 v16, v22, v23
.LBB0_96:                               ;   in Loop: Header=BB0_81 Depth=3
	s_or_b64 exec, exec, s[50:51]
.LBB0_97:                               ;   in Loop: Header=BB0_81 Depth=3
	s_andn2_saveexec_b64 s[48:49], s[48:49]
	s_cbranch_execz .LBB0_99
; %bb.98:                               ;   in Loop: Header=BB0_81 Depth=3
	v_mov_b32_e32 v22, s58
	ds_read_b32 v22, v22 offset:8
	s_waitcnt lgkmcnt(0)
	v_add_f32_e32 v16, v16, v22
.LBB0_99:                               ;   in Loop: Header=BB0_81 Depth=3
	s_or_b64 exec, exec, s[48:49]
	v_cmp_ne_u32_e32 vcc, s57, v19
	s_or_b64 s[48:49], s[40:41], vcc
	s_and_saveexec_b64 s[50:51], s[48:49]
	s_xor_b64 s[48:49], exec, s[50:51]
	s_cbranch_execz .LBB0_103
; %bb.100:                              ;   in Loop: Header=BB0_81 Depth=3
	s_add_i32 s59, s59, 3
	s_cmp_lt_i32 s59, s25
	s_cselect_b64 s[50:51], -1, 0
	v_cmp_ge_i32_e32 vcc, s59, v18
	s_and_b64 s[60:61], s[50:51], vcc
	s_and_saveexec_b64 s[50:51], s[60:61]
	s_cbranch_execz .LBB0_102
; %bb.101:                              ;   in Loop: Header=BB0_81 Depth=3
	global_load_dword v22, v[7:8], off offset:12
	v_mov_b32_e32 v23, s58
	ds_read_b32 v23, v23 offset:12
	s_waitcnt vmcnt(0) lgkmcnt(0)
	v_fmac_f32_e32 v16, v22, v23
.LBB0_102:                              ;   in Loop: Header=BB0_81 Depth=3
	s_or_b64 exec, exec, s[50:51]
.LBB0_103:                              ;   in Loop: Header=BB0_81 Depth=3
	s_andn2_saveexec_b64 s[48:49], s[48:49]
	s_cbranch_execz .LBB0_80
; %bb.104:                              ;   in Loop: Header=BB0_81 Depth=3
	v_mov_b32_e32 v22, s58
	ds_read_b32 v22, v22 offset:12
	s_waitcnt lgkmcnt(0)
	v_add_f32_e32 v16, v16, v22
	s_branch .LBB0_80
.LBB0_105:                              ;   in Loop: Header=BB0_59 Depth=1
	s_or_b64 exec, exec, s[42:43]
.LBB0_106:                              ;   in Loop: Header=BB0_59 Depth=1
	s_and_saveexec_b64 s[42:43], s[0:1]
	s_cbranch_execz .LBB0_58
; %bb.107:                              ;   in Loop: Header=BB0_59 Depth=1
	v_mad_u64_u32 v[5:6], s[0:1], s20, v14, 0
	v_mov_b32_e32 v8, s33
	v_mad_u64_u32 v[6:7], s[0:1], s21, v14, v[6:7]
	ds_read_b32 v7, v9
	v_lshlrev_b64 v[5:6], 2, v[5:6]
	v_add_co_u32_e32 v5, vcc, s24, v5
	v_addc_co_u32_e32 v6, vcc, v8, v6, vcc
	s_waitcnt lgkmcnt(0)
	global_store_dword v[5:6], v7, off
	s_branch .LBB0_58
.LBB0_108:
	s_mov_b64 s[0:1], 0
.LBB0_109:
	s_andn2_b64 vcc, exec, s[0:1]
	s_cbranch_vccnz .LBB0_183
; %bb.110:
	s_mov_b64 s[0:1], -1
	s_and_b64 vcc, exec, s[36:37]
	s_cbranch_vccz .LBB0_147
; %bb.111:
	s_andn2_b64 vcc, exec, s[6:7]
	s_cbranch_vccnz .LBB0_146
; %bb.112:
	s_lshl_b64 s[16:17], s[12:13], 11
	s_lshl_b64 s[18:19], s[12:13], 2
	s_add_u32 s0, s28, s18
	s_addc_u32 s1, s29, s19
	s_add_u32 s0, s0, s30
	s_addc_u32 s1, s1, s31
	s_add_u32 s0, s8, s0
	s_addc_u32 s1, s9, s1
	s_add_u32 s22, s0, -4
	s_addc_u32 s23, s1, -1
	s_lshl_b64 s[0:1], s[12:13], 3
	s_add_u32 s27, s0, -8
	v_lshlrev_b32_e32 v5, 2, v0
	v_or_b32_e32 v6, 0x200, v0
	s_addc_u32 s58, s1, -1
	s_mov_b32 s59, 0
	s_mov_b64 s[36:37], 0
	s_xor_b64 s[38:39], s[4:5], -1
	v_mov_b32_e32 v2, 0
	s_branch .LBB0_114
.LBB0_113:                              ;   in Loop: Header=BB0_114 Depth=1
	s_or_b64 exec, exec, s[40:41]
	s_add_u32 s34, s34, s16
	s_addc_u32 s35, s35, s17
	s_add_u32 s36, s36, 0xfffffe00
	s_addc_u32 s37, s37, -1
	s_add_u32 s22, s22, s16
	v_add_u32_e32 v6, 0x200, v6
	s_addc_u32 s23, s23, s17
	s_and_b64 vcc, exec, s[2:3]
	s_mov_b32 s59, s60
	s_waitcnt vmcnt(0)
	s_barrier
	s_cbranch_vccnz .LBB0_146
.LBB0_114:                              ; =>This Loop Header: Depth=1
                                        ;     Child Loop BB0_118 Depth 2
                                        ;     Child Loop BB0_128 Depth 2
                                        ;       Child Loop BB0_131 Depth 3
	v_add_u32_e32 v7, s59, v0
	v_cmp_le_i32_e32 vcc, s25, v7
	v_cmp_gt_i32_e64 s[0:1], s25, v7
	s_and_saveexec_b64 s[40:41], s[0:1]
	s_cbranch_execz .LBB0_116
; %bb.115:                              ;   in Loop: Header=BB0_114 Depth=1
	v_mad_u64_u32 v[3:4], s[2:3], s20, v7, 0
	v_mov_b32_e32 v1, v4
	v_mad_u64_u32 v[8:9], s[2:3], s21, v7, v[1:2]
	v_mov_b32_e32 v1, s33
	v_mov_b32_e32 v4, v8
	v_lshlrev_b64 v[3:4], 2, v[3:4]
	v_add_co_u32_e64 v3, s[2:3], s24, v3
	v_addc_co_u32_e64 v4, s[2:3], v1, v4, s[2:3]
	global_load_dword v1, v[3:4], off
	s_waitcnt vmcnt(0)
	ds_write_b32 v5, v1
.LBB0_116:                              ;   in Loop: Header=BB0_114 Depth=1
	s_or_b64 exec, exec, s[40:41]
	v_subrev_u32_e32 v3, s26, v7
	s_mov_b32 s44, 0
	s_xor_b64 s[40:41], vcc, -1
	s_mov_b64 s[42:43], s[34:35]
	v_mov_b32_e32 v1, v0
	s_mov_b32 s45, 0
	s_waitcnt lgkmcnt(0)
	s_barrier
	s_branch .LBB0_118
.LBB0_117:                              ;   in Loop: Header=BB0_118 Depth=2
	s_or_b64 exec, exec, s[2:3]
	s_add_i32 s45, s45, 1
	s_add_i32 s44, s44, 4
	s_add_u32 s42, s42, s18
	s_addc_u32 s43, s43, s19
	s_cmpk_eq_i32 s45, 0x200
	v_add_u32_e32 v1, -1, v1
	s_cselect_b64 s[2:3], -1, 0
	s_and_b64 vcc, exec, s[2:3]
	s_cbranch_vccnz .LBB0_124
.LBB0_118:                              ;   Parent Loop BB0_114 Depth=1
                                        ; =>  This Inner Loop Header: Depth=2
	s_add_i32 s46, s59, s45
	s_cmp_ge_i32 s46, s25
	s_cbranch_scc1 .LBB0_123
; %bb.119:                              ;   in Loop: Header=BB0_118 Depth=2
	v_cmp_eq_u32_e32 vcc, s45, v0
	s_and_b64 s[48:49], s[38:39], vcc
	s_and_saveexec_b64 s[2:3], s[48:49]
	s_cbranch_execz .LBB0_121
; %bb.120:                              ;   in Loop: Header=BB0_118 Depth=2
	global_load_dword v4, v2, s[42:43]
	ds_read_b32 v8, v5
	s_waitcnt vmcnt(0) lgkmcnt(0)
	v_div_scale_f32 v9, s[48:49], v4, v4, v8
	v_div_scale_f32 v10, vcc, v8, v4, v8
	v_rcp_f32_e32 v11, v9
	v_fma_f32 v12, -v9, v11, 1.0
	v_fmac_f32_e32 v11, v12, v11
	v_mul_f32_e32 v12, v10, v11
	v_fma_f32 v13, -v9, v12, v10
	v_fmac_f32_e32 v12, v13, v11
	v_fma_f32 v9, -v9, v12, v10
	v_div_fmas_f32 v9, v9, v11, v12
	v_div_fixup_f32 v4, v9, v4, v8
	ds_write_b32 v5, v4
.LBB0_121:                              ;   in Loop: Header=BB0_118 Depth=2
	s_or_b64 exec, exec, s[2:3]
	v_cmp_lt_u32_e32 vcc, s45, v0
	v_cmp_ge_i32_e64 s[2:3], s46, v3
	s_and_b64 s[46:47], s[40:41], vcc
	s_and_b64 s[46:47], s[46:47], s[2:3]
	s_waitcnt lgkmcnt(0)
	s_barrier
	s_and_saveexec_b64 s[2:3], s[46:47]
	s_cbranch_execz .LBB0_117
; %bb.122:                              ;   in Loop: Header=BB0_118 Depth=2
	v_lshlrev_b64 v[8:9], 2, v[1:2]
	v_mov_b32_e32 v4, s43
	v_add_co_u32_e32 v8, vcc, s42, v8
	v_addc_co_u32_e32 v9, vcc, v4, v9, vcc
	global_load_dword v4, v[8:9], off
	v_mov_b32_e32 v8, s44
	ds_read_b32 v8, v8
	ds_read_b32 v9, v5
	s_waitcnt vmcnt(0) lgkmcnt(0)
	v_fma_f32 v4, -v4, v8, v9
	ds_write_b32 v5, v4
	s_branch .LBB0_117
.LBB0_123:                              ;   in Loop: Header=BB0_118 Depth=2
                                        ; implicit-def: $sgpr45
                                        ; implicit-def: $sgpr44
                                        ; implicit-def: $sgpr42_sgpr43
	s_cbranch_execz .LBB0_118
.LBB0_124:                              ;   in Loop: Header=BB0_114 Depth=1
	s_add_i32 s60, s59, 0x200
	s_cmp_ge_i32 s60, s25
	s_cselect_b64 s[2:3], -1, 0
	s_and_b64 vcc, exec, s[2:3]
	s_waitcnt lgkmcnt(0)
	s_barrier
	s_cbranch_vccnz .LBB0_144
; %bb.125:                              ;   in Loop: Header=BB0_114 Depth=1
	v_ashrrev_i32_e32 v1, 31, v6
	v_mov_b32_e32 v4, s37
	v_add_co_u32_e32 v3, vcc, s36, v6
	v_addc_co_u32_e32 v4, vcc, v4, v1, vcc
	v_lshlrev_b64 v[3:4], 2, v[3:4]
	s_mov_b64 s[40:41], 0
	s_mov_b64 s[42:43], s[34:35]
	;; [unrolled: 1-line block ×3, first 2 shown]
	v_mov_b32_e32 v1, v0
	s_mov_b32 s61, s60
                                        ; implicit-def: $sgpr46_sgpr47
	s_branch .LBB0_128
.LBB0_126:                              ;   in Loop: Header=BB0_128 Depth=2
	v_mad_u64_u32 v[10:11], s[50:51], s20, v9, 0
	s_addk_i32 s61, 0x200
	s_add_u32 s44, s44, 0x800
	v_mad_u64_u32 v[11:12], s[50:51], s21, v9, v[11:12]
	v_mov_b32_e32 v12, s33
	s_addc_u32 s45, s45, 0
	v_lshlrev_b64 v[9:10], 2, v[10:11]
	s_add_u32 s42, s42, 0x800
	v_add_co_u32_e32 v9, vcc, s24, v9
	v_addc_co_u32_e32 v10, vcc, v12, v10, vcc
	global_load_dword v11, v[9:10], off
	s_addc_u32 s43, s43, 0
	s_cmp_ge_i32 s61, s25
	s_cselect_b64 s[50:51], -1, 0
	s_andn2_b64 s[46:47], s[46:47], exec
	s_and_b64 s[50:51], s[50:51], exec
	s_or_b64 s[46:47], s[46:47], s[50:51]
	s_waitcnt vmcnt(0)
	v_sub_f32_e32 v8, v11, v8
	global_store_dword v[9:10], v8, off
.LBB0_127:                              ;   in Loop: Header=BB0_128 Depth=2
	s_or_b64 exec, exec, s[48:49]
	s_and_b64 s[48:49], exec, s[46:47]
	s_or_b64 s[40:41], s[48:49], s[40:41]
	s_andn2_b64 exec, exec, s[40:41]
	s_cbranch_execz .LBB0_143
.LBB0_128:                              ;   Parent Loop BB0_114 Depth=1
                                        ; =>  This Loop Header: Depth=2
                                        ;       Child Loop BB0_131 Depth 3
	v_add_u32_e32 v9, s61, v0
	v_cmp_gt_i32_e32 vcc, s25, v9
	s_or_b64 s[46:47], s[46:47], exec
	s_and_saveexec_b64 s[48:49], vcc
	s_cbranch_execz .LBB0_127
; %bb.129:                              ;   in Loop: Header=BB0_128 Depth=2
	v_subrev_u32_e32 v10, s26, v9
	v_add_u32_e32 v11, 0x1ff, v1
	v_add_u32_e32 v1, 0x200, v1
	v_mov_b32_e32 v8, 0
	s_mov_b32 s62, 0
	s_mov_b64 s[50:51], s[42:43]
	s_mov_b64 s[52:53], s[44:45]
	s_mov_b32 s63, 0
	s_branch .LBB0_131
.LBB0_130:                              ;   in Loop: Header=BB0_131 Depth=3
	s_or_b64 exec, exec, s[54:55]
	s_add_i32 s63, s63, 2
	s_add_u32 s52, s52, s27
	s_addc_u32 s53, s53, s58
	s_add_i32 s62, s62, 8
	s_add_u32 s50, s50, s27
	s_addc_u32 s51, s51, s58
	s_cmpk_eq_i32 s63, 0x200
	s_cbranch_scc1 .LBB0_126
.LBB0_131:                              ;   Parent Loop BB0_114 Depth=1
                                        ;     Parent Loop BB0_128 Depth=2
                                        ; =>    This Inner Loop Header: Depth=3
	v_cmp_ne_u32_e32 vcc, s63, v1
	s_add_i32 s64, s59, s63
	s_or_b64 s[54:55], s[38:39], vcc
	s_and_saveexec_b64 s[56:57], s[54:55]
	s_xor_b64 s[54:55], exec, s[56:57]
	s_cbranch_execz .LBB0_135
; %bb.132:                              ;   in Loop: Header=BB0_131 Depth=3
	s_cmp_lt_i32 s64, s25
	s_cselect_b64 s[56:57], -1, 0
	v_cmp_ge_i32_e32 vcc, s64, v10
	s_and_b64 s[66:67], s[56:57], vcc
	s_and_saveexec_b64 s[56:57], s[66:67]
	s_cbranch_execz .LBB0_134
; %bb.133:                              ;   in Loop: Header=BB0_131 Depth=3
	v_mov_b32_e32 v13, s51
	v_add_co_u32_e32 v12, vcc, s50, v3
	v_addc_co_u32_e32 v13, vcc, v13, v4, vcc
	global_load_dword v12, v[12:13], off
	v_mov_b32_e32 v13, s62
	ds_read_b32 v13, v13
	s_waitcnt vmcnt(0) lgkmcnt(0)
	v_fmac_f32_e32 v8, v12, v13
.LBB0_134:                              ;   in Loop: Header=BB0_131 Depth=3
	s_or_b64 exec, exec, s[56:57]
.LBB0_135:                              ;   in Loop: Header=BB0_131 Depth=3
	s_andn2_saveexec_b64 s[54:55], s[54:55]
	s_cbranch_execz .LBB0_137
; %bb.136:                              ;   in Loop: Header=BB0_131 Depth=3
	v_mov_b32_e32 v12, s62
	ds_read_b32 v12, v12
	s_waitcnt lgkmcnt(0)
	v_add_f32_e32 v8, v8, v12
.LBB0_137:                              ;   in Loop: Header=BB0_131 Depth=3
	s_or_b64 exec, exec, s[54:55]
	v_cmp_ne_u32_e32 vcc, s63, v11
	s_or_b64 s[54:55], s[38:39], vcc
	s_and_saveexec_b64 s[56:57], s[54:55]
	s_xor_b64 s[54:55], exec, s[56:57]
	s_cbranch_execz .LBB0_141
; %bb.138:                              ;   in Loop: Header=BB0_131 Depth=3
	s_add_i32 s64, s64, 1
	s_cmp_lt_i32 s64, s25
	s_cselect_b64 s[56:57], -1, 0
	v_cmp_ge_i32_e32 vcc, s64, v10
	s_and_b64 s[64:65], s[56:57], vcc
	s_and_saveexec_b64 s[56:57], s[64:65]
	s_cbranch_execz .LBB0_140
; %bb.139:                              ;   in Loop: Header=BB0_131 Depth=3
	v_mov_b32_e32 v13, s53
	v_add_co_u32_e32 v12, vcc, s52, v3
	v_addc_co_u32_e32 v13, vcc, v13, v4, vcc
	global_load_dword v12, v[12:13], off
	v_mov_b32_e32 v13, s62
	ds_read_b32 v13, v13 offset:4
	s_waitcnt vmcnt(0) lgkmcnt(0)
	v_fmac_f32_e32 v8, v12, v13
.LBB0_140:                              ;   in Loop: Header=BB0_131 Depth=3
	s_or_b64 exec, exec, s[56:57]
.LBB0_141:                              ;   in Loop: Header=BB0_131 Depth=3
	s_andn2_saveexec_b64 s[54:55], s[54:55]
	s_cbranch_execz .LBB0_130
; %bb.142:                              ;   in Loop: Header=BB0_131 Depth=3
	v_mov_b32_e32 v12, s62
	ds_read_b32 v12, v12 offset:4
	s_waitcnt lgkmcnt(0)
	v_add_f32_e32 v8, v8, v12
	s_branch .LBB0_130
.LBB0_143:                              ;   in Loop: Header=BB0_114 Depth=1
	s_or_b64 exec, exec, s[40:41]
.LBB0_144:                              ;   in Loop: Header=BB0_114 Depth=1
	s_and_saveexec_b64 s[40:41], s[0:1]
	s_cbranch_execz .LBB0_113
; %bb.145:                              ;   in Loop: Header=BB0_114 Depth=1
	v_mad_u64_u32 v[3:4], s[0:1], s20, v7, 0
	v_mov_b32_e32 v1, v4
	v_mad_u64_u32 v[7:8], s[0:1], s21, v7, v[1:2]
	ds_read_b32 v1, v5
	v_mov_b32_e32 v8, s33
	v_mov_b32_e32 v4, v7
	v_lshlrev_b64 v[3:4], 2, v[3:4]
	v_add_co_u32_e32 v3, vcc, s24, v3
	v_addc_co_u32_e32 v4, vcc, v8, v4, vcc
	s_waitcnt lgkmcnt(0)
	global_store_dword v[3:4], v1, off
	s_branch .LBB0_113
.LBB0_146:
	s_mov_b64 s[0:1], 0
.LBB0_147:
	s_andn2_b64 vcc, exec, s[0:1]
	s_cbranch_vccnz .LBB0_183
; %bb.148:
	s_andn2_b64 vcc, exec, s[6:7]
	s_cbranch_vccnz .LBB0_183
; %bb.149:
	s_add_i32 s22, s25, 0xfffffe00
	s_add_i32 s6, s25, -1
	s_add_u32 s2, s28, s30
	s_addc_u32 s3, s29, s31
	s_ashr_i32 s27, s26, 31
	s_lshl_b64 s[0:1], s[26:27], 2
	s_add_u32 s2, s2, s0
	s_addc_u32 s3, s3, s1
	s_ashr_i32 s7, s6, 31
	s_lshl_b64 s[0:1], s[6:7], 2
	s_sub_u32 s0, s2, s0
	s_subb_u32 s1, s3, s1
	s_add_u32 s16, s8, s0
	s_addc_u32 s17, s9, s1
	s_lshl_b64 s[18:19], s[12:13], 2
	s_add_u32 s7, s18, 4
	s_addc_u32 s38, s19, 0
	s_add_u32 s0, s10, s14
	s_addc_u32 s1, s11, s15
	;; [unrolled: 2-line block ×3, first 2 shown]
	s_ashr_i32 s3, s25, 31
	s_mov_b32 s2, s25
	s_lshl_b64 s[0:1], s[0:1], 2
	s_lshl_b64 s[2:3], s[2:3], 2
	s_sub_u32 s0, s0, s2
	s_subb_u32 s1, s1, s3
	s_add_u32 s0, s8, s0
	s_addc_u32 s1, s9, s1
	s_add_u32 s8, s0, 0x7fc
	s_addc_u32 s9, s1, 0
	s_add_i32 s27, s25, 0xfffffe01
	s_add_u32 s39, s0, 0x800
	s_addc_u32 s40, s1, 0
	s_lshl_b64 s[0:1], s[12:13], 3
	v_mov_b32_e32 v1, 0x1000
	v_add_u32_e32 v2, s25, v0
	s_add_u32 s41, s0, -8
	v_lshl_or_b32 v8, v0, 2, v1
	v_add_u32_e32 v1, 0xfffffe00, v2
	v_add_u32_e32 v9, 0xfffffc00, v2
	s_addc_u32 s42, s1, -1
	v_mov_b32_e32 v3, 0
	s_xor_b64 s[4:5], s[4:5], -1
	s_branch .LBB0_151
.LBB0_150:                              ;   in Loop: Header=BB0_151 Depth=1
	s_or_b64 exec, exec, s[10:11]
	s_addk_i32 s6, 0xfe00
	s_add_u32 s16, s16, 0x800
	s_addc_u32 s17, s17, 0
	s_addk_i32 s25, 0xfe00
	s_add_u32 s8, s8, 0x800
	s_addc_u32 s9, s9, 0
	s_addk_i32 s27, 0xfe00
	s_add_u32 s39, s39, 0x800
	v_add_u32_e32 v1, 0xfffffe00, v1
	v_add_u32_e32 v9, 0xfffffe00, v9
	s_addc_u32 s40, s40, 0
	s_and_b64 vcc, exec, s[2:3]
	s_mov_b32 s22, s43
	s_waitcnt vmcnt(0)
	s_barrier
	s_cbranch_vccnz .LBB0_183
.LBB0_151:                              ; =>This Loop Header: Depth=1
                                        ;     Child Loop BB0_156 Depth 2
                                        ;     Child Loop BB0_165 Depth 2
                                        ;       Child Loop BB0_168 Depth 3
	v_add_u32_e32 v10, s22, v0
	v_cmp_gt_i32_e32 vcc, 0, v10
	v_cmp_lt_i32_e64 s[0:1], -1, v10
	s_and_saveexec_b64 s[10:11], s[0:1]
	s_cbranch_execz .LBB0_153
; %bb.152:                              ;   in Loop: Header=BB0_151 Depth=1
	v_mad_u64_u32 v[4:5], s[2:3], s20, v10, 0
	v_mov_b32_e32 v2, v5
	v_mad_u64_u32 v[5:6], s[2:3], s21, v10, v[2:3]
	v_mov_b32_e32 v2, s33
	v_lshlrev_b64 v[4:5], 2, v[4:5]
	v_add_co_u32_e64 v4, s[2:3], s24, v4
	v_addc_co_u32_e64 v5, s[2:3], v2, v5, s[2:3]
	global_load_dword v2, v[4:5], off
	s_waitcnt vmcnt(0)
	ds_write_b32 v8, v2
.LBB0_153:                              ;   in Loop: Header=BB0_151 Depth=1
	s_or_b64 exec, exec, s[10:11]
	v_mov_b32_e32 v2, v3
	v_lshlrev_b64 v[4:5], 2, v[1:2]
	v_mov_b32_e32 v2, s17
	v_add_co_u32_e64 v4, s[2:3], s16, v4
	v_mov_b32_e32 v6, s16
	v_addc_co_u32_e64 v5, s[2:3], v2, v5, s[2:3]
	v_add_u32_e32 v2, s26, v10
	s_movk_i32 s12, 0x1ff
	s_movk_i32 s13, 0x17fc
	v_mov_b32_e32 v7, s17
	s_xor_b64 s[10:11], vcc, -1
	s_mov_b32 s14, s6
	s_waitcnt lgkmcnt(0)
	s_barrier
	s_branch .LBB0_156
.LBB0_154:                              ;   in Loop: Header=BB0_156 Depth=2
	s_or_b64 exec, exec, s[2:3]
	v_add_co_u32_e32 v4, vcc, 4, v4
	s_add_i32 s12, s12, -1
	s_add_i32 s13, s13, -4
	v_addc_co_u32_e32 v5, vcc, 0, v5, vcc
	s_add_i32 s14, s14, -1
	v_add_co_u32_e32 v6, vcc, 4, v6
	s_cmp_eq_u32 s12, -1
	v_addc_co_u32_e32 v7, vcc, 0, v7, vcc
	s_cselect_b64 s[2:3], -1, 0
.LBB0_155:                              ;   in Loop: Header=BB0_156 Depth=2
	s_and_b64 vcc, exec, s[2:3]
	s_cbranch_vccnz .LBB0_161
.LBB0_156:                              ;   Parent Loop BB0_151 Depth=1
                                        ; =>  This Inner Loop Header: Depth=2
	s_add_i32 s15, s6, s12
	s_addk_i32 s15, 0xfe01
	s_cmp_lt_i32 s15, 0
	s_mov_b64 s[2:3], -1
	s_cbranch_scc1 .LBB0_155
; %bb.157:                              ;   in Loop: Header=BB0_156 Depth=2
	v_cmp_eq_u32_e32 vcc, s12, v0
	s_and_b64 s[28:29], s[4:5], vcc
	s_and_saveexec_b64 s[2:3], s[28:29]
	s_cbranch_execz .LBB0_159
; %bb.158:                              ;   in Loop: Header=BB0_156 Depth=2
	s_mul_i32 s23, s38, s14
	s_mul_hi_u32 s28, s7, s14
	s_add_i32 s23, s28, s23
	s_mul_i32 s28, s7, s14
	v_mov_b32_e32 v12, s23
	v_add_co_u32_e32 v11, vcc, s28, v6
	v_addc_co_u32_e32 v12, vcc, v7, v12, vcc
	global_load_dword v11, v[11:12], off
	ds_read_b32 v12, v8
	s_waitcnt vmcnt(0) lgkmcnt(0)
	v_div_scale_f32 v13, s[28:29], v11, v11, v12
	v_div_scale_f32 v14, vcc, v12, v11, v12
	v_rcp_f32_e32 v15, v13
	v_fma_f32 v16, -v13, v15, 1.0
	v_fmac_f32_e32 v15, v16, v15
	v_mul_f32_e32 v16, v14, v15
	v_fma_f32 v17, -v13, v16, v14
	v_fmac_f32_e32 v16, v17, v15
	v_fma_f32 v13, -v13, v16, v14
	v_div_fmas_f32 v13, v13, v15, v16
	v_div_fixup_f32 v11, v13, v11, v12
	ds_write_b32 v8, v11
.LBB0_159:                              ;   in Loop: Header=BB0_156 Depth=2
	s_or_b64 exec, exec, s[2:3]
	v_cmp_gt_u32_e32 vcc, s12, v0
	v_cmp_le_i32_e64 s[2:3], s15, v2
	s_and_b64 s[28:29], s[10:11], vcc
	s_and_b64 s[28:29], s[28:29], s[2:3]
	s_waitcnt lgkmcnt(0)
	s_barrier
	s_and_saveexec_b64 s[2:3], s[28:29]
	s_cbranch_execz .LBB0_154
; %bb.160:                              ;   in Loop: Header=BB0_156 Depth=2
	v_mov_b32_e32 v11, s14
	v_mad_u64_u32 v[11:12], s[28:29], s18, v11, v[4:5]
	s_mul_i32 s15, s19, s14
	v_add_u32_e32 v12, s15, v12
	global_load_dword v11, v[11:12], off
	v_mov_b32_e32 v12, s13
	ds_read_b32 v12, v12
	ds_read_b32 v13, v8
	s_waitcnt vmcnt(0) lgkmcnt(0)
	v_fma_f32 v11, -v11, v12, v13
	ds_write_b32 v8, v11
	s_branch .LBB0_154
.LBB0_161:                              ;   in Loop: Header=BB0_151 Depth=1
	s_add_i32 s43, s22, 0xfffffe00
	s_cmp_lt_i32 s22, 1
	s_cselect_b64 s[2:3], -1, 0
	s_and_b64 vcc, exec, s[2:3]
	s_waitcnt lgkmcnt(0)
	s_barrier
	s_cbranch_vccnz .LBB0_181
; %bb.162:                              ;   in Loop: Header=BB0_151 Depth=1
	s_mul_i32 s10, s19, s22
	s_mul_hi_u32 s11, s18, s22
	s_add_i32 s11, s11, s10
	s_mul_i32 s10, s18, s22
	s_add_u32 s10, s39, s10
	s_addc_u32 s11, s40, s11
	s_mov_b64 s[12:13], 0
	v_mov_b32_e32 v2, v9
	v_mov_b32_e32 v6, v0
	s_mov_b32 s44, s43
                                        ; implicit-def: $sgpr14_sgpr15
	s_branch .LBB0_165
.LBB0_163:                              ;   in Loop: Header=BB0_165 Depth=2
	v_mad_u64_u32 v[4:5], s[28:29], s20, v11, 0
	s_add_i32 s30, s44, 0xfffffe00
	s_cmp_lt_i32 s44, 1
	v_mad_u64_u32 v[11:12], s[28:29], s21, v11, v[5:6]
	v_mov_b32_e32 v12, s33
	s_cselect_b64 s[28:29], -1, 0
	v_mov_b32_e32 v5, v11
	v_lshlrev_b64 v[4:5], 2, v[4:5]
	s_andn2_b64 s[14:15], s[14:15], exec
	v_add_co_u32_e32 v4, vcc, s24, v4
	v_addc_co_u32_e32 v5, vcc, v12, v5, vcc
	global_load_dword v11, v[4:5], off
	s_and_b64 s[28:29], s[28:29], exec
	v_add_u32_e32 v2, 0xfffffe00, v2
	s_or_b64 s[14:15], s[14:15], s[28:29]
	s_mov_b32 s44, s30
	s_waitcnt vmcnt(0)
	v_sub_f32_e32 v7, v11, v7
	global_store_dword v[4:5], v7, off
.LBB0_164:                              ;   in Loop: Header=BB0_165 Depth=2
	s_or_b64 exec, exec, s[22:23]
	s_and_b64 s[22:23], exec, s[14:15]
	s_or_b64 s[12:13], s[22:23], s[12:13]
	s_andn2_b64 exec, exec, s[12:13]
	s_cbranch_execz .LBB0_180
.LBB0_165:                              ;   Parent Loop BB0_151 Depth=1
                                        ; =>  This Loop Header: Depth=2
                                        ;       Child Loop BB0_168 Depth 3
	v_add_u32_e32 v11, s44, v0
	v_cmp_lt_i32_e32 vcc, -1, v11
	s_or_b64 s[14:15], s[14:15], exec
	s_and_saveexec_b64 s[22:23], vcc
	s_cbranch_execz .LBB0_164
; %bb.166:                              ;   in Loop: Header=BB0_165 Depth=2
	v_lshlrev_b64 v[4:5], 2, v[2:3]
	v_add_u32_e32 v12, s26, v11
	v_add_u32_e32 v13, 0xfffffdff, v6
	;; [unrolled: 1-line block ×3, first 2 shown]
	v_mov_b32_e32 v7, 0
	s_mov_b32 s45, 0
	s_movk_i32 s46, 0x1000
	s_mov_b64 s[28:29], s[10:11]
	s_mov_b32 s47, s27
	s_mov_b64 s[30:31], s[8:9]
	s_branch .LBB0_168
.LBB0_167:                              ;   in Loop: Header=BB0_168 Depth=3
	s_or_b64 exec, exec, s[34:35]
	s_add_i32 s45, s45, 2
	s_add_i32 s46, s46, 8
	s_add_u32 s30, s30, -8
	s_addc_u32 s31, s31, -1
	s_add_i32 s47, s47, 2
	s_add_u32 s28, s28, s41
	s_addc_u32 s29, s29, s42
	s_cmpk_eq_i32 s45, 0x200
	s_cbranch_scc1 .LBB0_163
.LBB0_168:                              ;   Parent Loop BB0_151 Depth=1
                                        ;     Parent Loop BB0_165 Depth=2
                                        ; =>    This Inner Loop Header: Depth=3
	v_cmp_ne_u32_e32 vcc, s45, v6
	s_add_i32 s48, s25, s45
	s_or_b64 s[34:35], s[4:5], vcc
	s_and_saveexec_b64 s[36:37], s[34:35]
	s_xor_b64 s[34:35], exec, s[36:37]
	s_cbranch_execz .LBB0_172
; %bb.169:                              ;   in Loop: Header=BB0_168 Depth=3
	s_add_i32 s36, s48, 0xfffffe00
	v_cmp_le_i32_e32 vcc, s36, v12
	s_and_saveexec_b64 s[36:37], vcc
	s_cbranch_execz .LBB0_171
; %bb.170:                              ;   in Loop: Header=BB0_168 Depth=3
	v_mov_b32_e32 v15, s29
	v_add_co_u32_e32 v14, vcc, s28, v4
	v_addc_co_u32_e32 v15, vcc, v15, v5, vcc
	global_load_dword v14, v[14:15], off
	v_mov_b32_e32 v15, s46
	ds_read_b32 v15, v15
	s_waitcnt vmcnt(0) lgkmcnt(0)
	v_fmac_f32_e32 v7, v14, v15
.LBB0_171:                              ;   in Loop: Header=BB0_168 Depth=3
	s_or_b64 exec, exec, s[36:37]
.LBB0_172:                              ;   in Loop: Header=BB0_168 Depth=3
	s_andn2_saveexec_b64 s[34:35], s[34:35]
	s_cbranch_execz .LBB0_174
; %bb.173:                              ;   in Loop: Header=BB0_168 Depth=3
	v_mov_b32_e32 v14, s46
	ds_read_b32 v14, v14
	s_waitcnt lgkmcnt(0)
	v_add_f32_e32 v7, v7, v14
.LBB0_174:                              ;   in Loop: Header=BB0_168 Depth=3
	s_or_b64 exec, exec, s[34:35]
	v_cmp_ne_u32_e32 vcc, s45, v13
	s_or_b64 s[34:35], s[4:5], vcc
	s_and_saveexec_b64 s[36:37], s[34:35]
	s_xor_b64 s[34:35], exec, s[36:37]
	s_cbranch_execz .LBB0_178
; %bb.175:                              ;   in Loop: Header=BB0_168 Depth=3
	s_addk_i32 s48, 0xfe01
	v_cmp_le_i32_e32 vcc, s48, v12
	s_and_saveexec_b64 s[36:37], vcc
	s_cbranch_execz .LBB0_177
; %bb.176:                              ;   in Loop: Header=BB0_168 Depth=3
	s_mul_i32 s48, s19, s47
	s_mul_hi_u32 s49, s18, s47
	s_add_i32 s49, s49, s48
	s_mul_i32 s48, s18, s47
	s_add_u32 s48, s30, s48
	s_addc_u32 s49, s31, s49
	v_mov_b32_e32 v15, s49
	v_add_co_u32_e32 v14, vcc, s48, v4
	v_addc_co_u32_e32 v15, vcc, v15, v5, vcc
	global_load_dword v14, v[14:15], off
	v_mov_b32_e32 v15, s46
	ds_read_b32 v15, v15 offset:4
	s_waitcnt vmcnt(0) lgkmcnt(0)
	v_fmac_f32_e32 v7, v14, v15
.LBB0_177:                              ;   in Loop: Header=BB0_168 Depth=3
	s_or_b64 exec, exec, s[36:37]
.LBB0_178:                              ;   in Loop: Header=BB0_168 Depth=3
	s_andn2_saveexec_b64 s[34:35], s[34:35]
	s_cbranch_execz .LBB0_167
; %bb.179:                              ;   in Loop: Header=BB0_168 Depth=3
	v_mov_b32_e32 v14, s46
	ds_read_b32 v14, v14 offset:4
	s_waitcnt lgkmcnt(0)
	v_add_f32_e32 v7, v7, v14
	s_branch .LBB0_167
.LBB0_180:                              ;   in Loop: Header=BB0_151 Depth=1
	s_or_b64 exec, exec, s[12:13]
.LBB0_181:                              ;   in Loop: Header=BB0_151 Depth=1
	s_and_saveexec_b64 s[10:11], s[0:1]
	s_cbranch_execz .LBB0_150
; %bb.182:                              ;   in Loop: Header=BB0_151 Depth=1
	v_mad_u64_u32 v[4:5], s[0:1], s20, v10, 0
	v_mov_b32_e32 v2, v5
	v_mad_u64_u32 v[5:6], s[0:1], s21, v10, v[2:3]
	ds_read_b32 v2, v8
	v_mov_b32_e32 v6, s33
	v_lshlrev_b64 v[4:5], 2, v[4:5]
	v_add_co_u32_e32 v4, vcc, s24, v4
	v_addc_co_u32_e32 v5, vcc, v6, v5, vcc
	s_waitcnt lgkmcnt(0)
	global_store_dword v[4:5], v2, off
	s_branch .LBB0_150
.LBB0_183:
	s_endpgm
	.section	.rodata,"a",@progbits
	.p2align	6, 0x0
	.amdhsa_kernel _ZL19rocblas_tbsv_kernelILb1ELi512EPKfPfEv18rocblas_operation_bbiiT1_lllT2_lll
		.amdhsa_group_segment_fixed_size 8192
		.amdhsa_private_segment_fixed_size 0
		.amdhsa_kernarg_size 80
		.amdhsa_user_sgpr_count 6
		.amdhsa_user_sgpr_private_segment_buffer 1
		.amdhsa_user_sgpr_dispatch_ptr 0
		.amdhsa_user_sgpr_queue_ptr 0
		.amdhsa_user_sgpr_kernarg_segment_ptr 1
		.amdhsa_user_sgpr_dispatch_id 0
		.amdhsa_user_sgpr_flat_scratch_init 0
		.amdhsa_user_sgpr_private_segment_size 0
		.amdhsa_uses_dynamic_stack 0
		.amdhsa_system_sgpr_private_segment_wavefront_offset 0
		.amdhsa_system_sgpr_workgroup_id_x 1
		.amdhsa_system_sgpr_workgroup_id_y 0
		.amdhsa_system_sgpr_workgroup_id_z 0
		.amdhsa_system_sgpr_workgroup_info 0
		.amdhsa_system_vgpr_workitem_id 0
		.amdhsa_next_free_vgpr 24
		.amdhsa_next_free_sgpr 68
		.amdhsa_reserve_vcc 1
		.amdhsa_reserve_flat_scratch 0
		.amdhsa_float_round_mode_32 0
		.amdhsa_float_round_mode_16_64 0
		.amdhsa_float_denorm_mode_32 3
		.amdhsa_float_denorm_mode_16_64 3
		.amdhsa_dx10_clamp 1
		.amdhsa_ieee_mode 1
		.amdhsa_fp16_overflow 0
		.amdhsa_exception_fp_ieee_invalid_op 0
		.amdhsa_exception_fp_denorm_src 0
		.amdhsa_exception_fp_ieee_div_zero 0
		.amdhsa_exception_fp_ieee_overflow 0
		.amdhsa_exception_fp_ieee_underflow 0
		.amdhsa_exception_fp_ieee_inexact 0
		.amdhsa_exception_int_div_zero 0
	.end_amdhsa_kernel
	.section	.text._ZL19rocblas_tbsv_kernelILb1ELi512EPKfPfEv18rocblas_operation_bbiiT1_lllT2_lll,"axG",@progbits,_ZL19rocblas_tbsv_kernelILb1ELi512EPKfPfEv18rocblas_operation_bbiiT1_lllT2_lll,comdat
.Lfunc_end0:
	.size	_ZL19rocblas_tbsv_kernelILb1ELi512EPKfPfEv18rocblas_operation_bbiiT1_lllT2_lll, .Lfunc_end0-_ZL19rocblas_tbsv_kernelILb1ELi512EPKfPfEv18rocblas_operation_bbiiT1_lllT2_lll
                                        ; -- End function
	.set _ZL19rocblas_tbsv_kernelILb1ELi512EPKfPfEv18rocblas_operation_bbiiT1_lllT2_lll.num_vgpr, 24
	.set _ZL19rocblas_tbsv_kernelILb1ELi512EPKfPfEv18rocblas_operation_bbiiT1_lllT2_lll.num_agpr, 0
	.set _ZL19rocblas_tbsv_kernelILb1ELi512EPKfPfEv18rocblas_operation_bbiiT1_lllT2_lll.numbered_sgpr, 68
	.set _ZL19rocblas_tbsv_kernelILb1ELi512EPKfPfEv18rocblas_operation_bbiiT1_lllT2_lll.num_named_barrier, 0
	.set _ZL19rocblas_tbsv_kernelILb1ELi512EPKfPfEv18rocblas_operation_bbiiT1_lllT2_lll.private_seg_size, 0
	.set _ZL19rocblas_tbsv_kernelILb1ELi512EPKfPfEv18rocblas_operation_bbiiT1_lllT2_lll.uses_vcc, 1
	.set _ZL19rocblas_tbsv_kernelILb1ELi512EPKfPfEv18rocblas_operation_bbiiT1_lllT2_lll.uses_flat_scratch, 0
	.set _ZL19rocblas_tbsv_kernelILb1ELi512EPKfPfEv18rocblas_operation_bbiiT1_lllT2_lll.has_dyn_sized_stack, 0
	.set _ZL19rocblas_tbsv_kernelILb1ELi512EPKfPfEv18rocblas_operation_bbiiT1_lllT2_lll.has_recursion, 0
	.set _ZL19rocblas_tbsv_kernelILb1ELi512EPKfPfEv18rocblas_operation_bbiiT1_lllT2_lll.has_indirect_call, 0
	.section	.AMDGPU.csdata,"",@progbits
; Kernel info:
; codeLenInByte = 6420
; TotalNumSgprs: 72
; NumVgprs: 24
; ScratchSize: 0
; MemoryBound: 0
; FloatMode: 240
; IeeeMode: 1
; LDSByteSize: 8192 bytes/workgroup (compile time only)
; SGPRBlocks: 8
; VGPRBlocks: 5
; NumSGPRsForWavesPerEU: 72
; NumVGPRsForWavesPerEU: 24
; Occupancy: 10
; WaveLimiterHint : 0
; COMPUTE_PGM_RSRC2:SCRATCH_EN: 0
; COMPUTE_PGM_RSRC2:USER_SGPR: 6
; COMPUTE_PGM_RSRC2:TRAP_HANDLER: 0
; COMPUTE_PGM_RSRC2:TGID_X_EN: 1
; COMPUTE_PGM_RSRC2:TGID_Y_EN: 0
; COMPUTE_PGM_RSRC2:TGID_Z_EN: 0
; COMPUTE_PGM_RSRC2:TIDIG_COMP_CNT: 0
	.section	.text._ZL19rocblas_tbsv_kernelILb0ELi512EPKfPfEv18rocblas_operation_bbiiT1_lllT2_lll,"axG",@progbits,_ZL19rocblas_tbsv_kernelILb0ELi512EPKfPfEv18rocblas_operation_bbiiT1_lllT2_lll,comdat
	.globl	_ZL19rocblas_tbsv_kernelILb0ELi512EPKfPfEv18rocblas_operation_bbiiT1_lllT2_lll ; -- Begin function _ZL19rocblas_tbsv_kernelILb0ELi512EPKfPfEv18rocblas_operation_bbiiT1_lllT2_lll
	.p2align	8
	.type	_ZL19rocblas_tbsv_kernelILb0ELi512EPKfPfEv18rocblas_operation_bbiiT1_lllT2_lll,@function
_ZL19rocblas_tbsv_kernelILb0ELi512EPKfPfEv18rocblas_operation_bbiiT1_lllT2_lll: ; @_ZL19rocblas_tbsv_kernelILb0ELi512EPKfPfEv18rocblas_operation_bbiiT1_lllT2_lll
; %bb.0:
	s_load_dwordx2 s[0:1], s[4:5], 0x0
	s_load_dwordx4 s[24:27], s[4:5], 0x4
	s_load_dwordx16 s[8:23], s[4:5], 0x10
	s_waitcnt lgkmcnt(0)
	s_bitcmp1_b32 s1, 0
	s_cselect_b64 s[2:3], -1, 0
	s_xor_b64 s[36:37], s[2:3], -1
	s_bitcmp1_b32 s24, 8
	s_mul_i32 s1, s15, s6
	s_mul_hi_u32 s2, s14, s6
	s_cselect_b64 s[4:5], -1, 0
	s_add_i32 s15, s2, s1
	s_mul_i32 s14, s14, s6
	s_lshl_b64 s[28:29], s[14:15], 2
	s_add_u32 s1, s8, s28
	s_addc_u32 s2, s9, s29
	s_lshl_b64 s[30:31], s[10:11], 2
	s_add_u32 s34, s1, s30
	s_addc_u32 s35, s2, s31
	s_mul_i32 s1, s23, s6
	s_mul_hi_u32 s2, s22, s6
	s_add_i32 s3, s2, s1
	s_mul_i32 s2, s22, s6
	s_lshl_b64 s[2:3], s[2:3], 2
	s_add_u32 s1, s16, s2
	s_addc_u32 s6, s17, s3
	s_lshl_b64 s[2:3], s[18:19], 2
	s_add_u32 s24, s1, s2
	s_addc_u32 s33, s6, s3
	s_cmp_gt_i32 s25, 0
	s_cselect_b64 s[6:7], -1, 0
	s_cmpk_lg_i32 s0, 0x6f
	s_mov_b64 s[0:1], -1
	s_cbranch_scc0 .LBB1_109
; %bb.1:
	s_and_b64 vcc, exec, s[36:37]
	s_cbranch_vccz .LBB1_55
; %bb.2:
	s_andn2_b64 vcc, exec, s[6:7]
	s_cbranch_vccnz .LBB1_54
; %bb.3:
	s_add_i32 s40, s25, 0xfffffe00
	s_add_u32 s2, s28, s30
	s_addc_u32 s3, s29, s31
	s_ashr_i32 s1, s25, 31
	s_mov_b32 s0, s25
	s_lshl_b64 s[0:1], s[0:1], 2
	s_add_u32 s0, s2, s0
	s_addc_u32 s1, s3, s1
	s_add_u32 s0, s8, s0
	v_mov_b32_e32 v1, 0x1800
	s_addc_u32 s1, s9, s1
	v_lshl_or_b32 v7, v0, 2, v1
	s_add_u32 s16, s0, 0xfffff800
	v_add_u32_e32 v1, s25, v0
	v_sub_u32_e32 v8, 0, v0
	v_add_u32_e32 v9, 0xfffffe01, v0
	s_addc_u32 s17, s1, -1
	v_add_u32_e32 v10, 0xfffffc00, v1
	s_lshl_b64 s[18:19], s[12:13], 2
	v_mov_b32_e32 v11, s35
	s_xor_b64 s[22:23], s[4:5], -1
	v_mov_b32_e32 v2, 0
	s_mov_b32 s27, s25
	s_branch .LBB1_5
.LBB1_4:                                ;   in Loop: Header=BB1_5 Depth=1
	s_or_b64 exec, exec, s[38:39]
	s_addk_i32 s27, 0xfe00
	s_add_u32 s16, s16, 0xfffff800
	s_addc_u32 s17, s17, -1
	v_add_u32_e32 v10, 0xfffffe00, v10
	s_andn2_b64 vcc, exec, s[2:3]
	s_mov_b32 s40, s48
	s_waitcnt vmcnt(0)
	s_barrier
	s_cbranch_vccz .LBB1_54
.LBB1_5:                                ; =>This Loop Header: Depth=1
                                        ;     Child Loop BB1_10 Depth 2
                                        ;     Child Loop BB1_24 Depth 2
                                        ;       Child Loop BB1_27 Depth 3
	v_add_u32_e32 v12, s40, v0
	v_cmp_gt_i32_e32 vcc, 0, v12
	v_cmp_lt_i32_e64 s[0:1], -1, v12
	s_and_saveexec_b64 s[38:39], s[0:1]
	s_cbranch_execz .LBB1_7
; %bb.6:                                ;   in Loop: Header=BB1_5 Depth=1
	v_mad_u64_u32 v[3:4], s[2:3], s20, v12, 0
	v_mov_b32_e32 v1, v4
	v_mad_u64_u32 v[4:5], s[2:3], s21, v12, v[1:2]
	v_mov_b32_e32 v1, s33
	v_lshlrev_b64 v[3:4], 2, v[3:4]
	v_add_co_u32_e64 v3, s[2:3], s24, v3
	v_addc_co_u32_e64 v4, s[2:3], v1, v4, s[2:3]
	global_load_dword v1, v[3:4], off
	s_waitcnt vmcnt(0)
	ds_write_b32 v7, v1
.LBB1_7:                                ;   in Loop: Header=BB1_5 Depth=1
	s_or_b64 exec, exec, s[38:39]
	v_ashrrev_i32_e32 v1, 31, v12
	v_mul_lo_u32 v6, s13, v12
	v_mul_lo_u32 v1, s12, v1
	v_mad_u64_u32 v[4:5], s[2:3], s12, v12, 0
	v_add_u32_e32 v3, s26, v12
	s_movk_i32 s41, 0x1ff
	v_add3_u32 v5, v5, v1, v6
	v_lshlrev_b64 v[4:5], 2, v[4:5]
	s_mov_b32 s42, 0
	v_add_co_u32_e64 v4, s[2:3], s34, v4
	v_addc_co_u32_e64 v5, s[2:3], v11, v5, s[2:3]
	s_movk_i32 s43, 0x1ff8
	s_xor_b64 s[38:39], vcc, -1
	s_waitcnt lgkmcnt(0)
	s_barrier
	s_branch .LBB1_10
.LBB1_8:                                ;   in Loop: Header=BB1_10 Depth=2
	s_or_b64 exec, exec, s[2:3]
	s_add_i32 s41, s41, -2
	s_add_i32 s42, s42, -2
	;; [unrolled: 1-line block ×3, first 2 shown]
	s_cmp_eq_u32 s44, 0
	s_cselect_b64 s[2:3], -1, 0
.LBB1_9:                                ;   in Loop: Header=BB1_10 Depth=2
	s_and_b64 vcc, exec, s[2:3]
	s_cbranch_vccnz .LBB1_20
.LBB1_10:                               ;   Parent Loop BB1_5 Depth=1
                                        ; =>  This Inner Loop Header: Depth=2
	s_add_i32 s44, s27, s42
	s_add_i32 s45, s44, -1
	s_cmp_lt_i32 s45, 0
	s_mov_b64 s[2:3], -1
	s_cbranch_scc1 .LBB1_9
; %bb.11:                               ;   in Loop: Header=BB1_10 Depth=2
	v_cmp_eq_u32_e32 vcc, s42, v9
	s_and_b64 s[46:47], s[22:23], vcc
	s_and_saveexec_b64 s[2:3], s[46:47]
	s_cbranch_execz .LBB1_13
; %bb.12:                               ;   in Loop: Header=BB1_10 Depth=2
	s_mul_i32 s46, s13, s45
	s_mul_hi_u32 s47, s12, s45
	s_add_i32 s47, s47, s46
	s_mul_i32 s46, s12, s45
	s_lshl_b64 s[46:47], s[46:47], 2
	s_add_u32 s46, s34, s46
	s_addc_u32 s47, s35, s47
	global_load_dword v1, v2, s[46:47]
	ds_read_b32 v6, v7
	s_waitcnt vmcnt(0) lgkmcnt(0)
	v_div_scale_f32 v13, s[46:47], v1, v1, v6
	v_div_scale_f32 v14, vcc, v6, v1, v6
	v_rcp_f32_e32 v15, v13
	v_fma_f32 v16, -v13, v15, 1.0
	v_fmac_f32_e32 v15, v16, v15
	v_mul_f32_e32 v16, v14, v15
	v_fma_f32 v17, -v13, v16, v14
	v_fmac_f32_e32 v16, v17, v15
	v_fma_f32 v13, -v13, v16, v14
	v_div_fmas_f32 v13, v13, v15, v16
	v_div_fixup_f32 v1, v13, v1, v6
	ds_write_b32 v7, v1
.LBB1_13:                               ;   in Loop: Header=BB1_10 Depth=2
	s_or_b64 exec, exec, s[2:3]
	v_cmp_gt_u32_e32 vcc, s41, v0
	v_cmp_le_i32_e64 s[2:3], s45, v3
	s_and_b64 s[46:47], s[38:39], vcc
	s_and_b64 s[46:47], s[46:47], s[2:3]
	s_waitcnt lgkmcnt(0)
	s_barrier
	s_and_saveexec_b64 s[2:3], s[46:47]
	s_cbranch_execz .LBB1_15
; %bb.14:                               ;   in Loop: Header=BB1_10 Depth=2
	v_add_u32_e32 v1, s42, v8
	v_add_u32_e32 v1, 0x1ff, v1
	v_lshlrev_b64 v[13:14], 2, v[1:2]
	v_mov_b32_e32 v6, s43
	v_add_co_u32_e32 v13, vcc, v4, v13
	v_addc_co_u32_e32 v14, vcc, v5, v14, vcc
	global_load_dword v1, v[13:14], off
	ds_read_b32 v6, v6 offset:4
	ds_read_b32 v13, v7
	s_waitcnt vmcnt(0) lgkmcnt(0)
	v_fma_f32 v1, -v1, v6, v13
	ds_write_b32 v7, v1
.LBB1_15:                               ;   in Loop: Header=BB1_10 Depth=2
	s_or_b64 exec, exec, s[2:3]
	s_add_i32 s45, s44, -2
	s_cmp_lt_i32 s45, 0
	s_mov_b64 s[2:3], -1
	s_cbranch_scc1 .LBB1_9
; %bb.16:                               ;   in Loop: Header=BB1_10 Depth=2
	s_add_i32 s44, s41, -1
	v_cmp_eq_u32_e32 vcc, s44, v0
	s_and_b64 s[46:47], s[22:23], vcc
	s_and_saveexec_b64 s[2:3], s[46:47]
	s_cbranch_execz .LBB1_18
; %bb.17:                               ;   in Loop: Header=BB1_10 Depth=2
	s_mul_i32 s46, s13, s45
	s_mul_hi_u32 s47, s12, s45
	s_add_i32 s47, s47, s46
	s_mul_i32 s46, s12, s45
	s_lshl_b64 s[46:47], s[46:47], 2
	s_add_u32 s46, s34, s46
	s_addc_u32 s47, s35, s47
	global_load_dword v1, v2, s[46:47]
	ds_read_b32 v6, v7
	s_waitcnt vmcnt(0) lgkmcnt(0)
	v_div_scale_f32 v13, s[46:47], v1, v1, v6
	v_div_scale_f32 v14, vcc, v6, v1, v6
	v_rcp_f32_e32 v15, v13
	v_fma_f32 v16, -v13, v15, 1.0
	v_fmac_f32_e32 v15, v16, v15
	v_mul_f32_e32 v16, v14, v15
	v_fma_f32 v17, -v13, v16, v14
	v_fmac_f32_e32 v16, v17, v15
	v_fma_f32 v13, -v13, v16, v14
	v_div_fmas_f32 v13, v13, v15, v16
	v_div_fixup_f32 v1, v13, v1, v6
	ds_write_b32 v7, v1
.LBB1_18:                               ;   in Loop: Header=BB1_10 Depth=2
	s_or_b64 exec, exec, s[2:3]
	v_cmp_gt_u32_e32 vcc, s44, v0
	v_cmp_le_i32_e64 s[2:3], s45, v3
	s_and_b64 s[46:47], s[38:39], vcc
	s_and_b64 s[46:47], s[46:47], s[2:3]
	s_waitcnt lgkmcnt(0)
	s_barrier
	s_and_saveexec_b64 s[2:3], s[46:47]
	s_cbranch_execz .LBB1_8
; %bb.19:                               ;   in Loop: Header=BB1_10 Depth=2
	v_add_u32_e32 v1, s42, v8
	v_add_u32_e32 v1, 0x1fe, v1
	v_lshlrev_b64 v[13:14], 2, v[1:2]
	v_mov_b32_e32 v6, s43
	v_add_co_u32_e32 v13, vcc, v4, v13
	v_addc_co_u32_e32 v14, vcc, v5, v14, vcc
	global_load_dword v1, v[13:14], off
	ds_read_b32 v6, v6
	ds_read_b32 v13, v7
	s_waitcnt vmcnt(0) lgkmcnt(0)
	v_fma_f32 v1, -v1, v6, v13
	ds_write_b32 v7, v1
	s_branch .LBB1_8
.LBB1_20:                               ;   in Loop: Header=BB1_5 Depth=1
	s_add_i32 s48, s40, 0xfffffe00
	s_cmp_lt_i32 s40, 1
	s_cselect_b64 s[2:3], -1, 0
	s_and_b64 vcc, exec, s[2:3]
	s_waitcnt lgkmcnt(0)
	s_barrier
	s_cbranch_vccnz .LBB1_52
; %bb.21:                               ;   in Loop: Header=BB1_5 Depth=1
	v_mad_i64_i32 v[3:4], s[38:39], v10, -4, s[16:17]
	s_mov_b64 s[38:39], 0
	v_mov_b32_e32 v1, v10
	v_mov_b32_e32 v13, v0
	s_mov_b32 s49, s48
                                        ; implicit-def: $sgpr40_sgpr41
	s_branch .LBB1_24
.LBB1_22:                               ;   in Loop: Header=BB1_24 Depth=2
	v_mad_u64_u32 v[5:6], s[44:45], s20, v15, 0
	s_add_i32 s46, s49, 0xfffffe00
	s_cmp_lt_i32 s49, 1
	v_mad_u64_u32 v[15:16], s[44:45], s21, v15, v[6:7]
	v_mov_b32_e32 v16, s33
	s_cselect_b64 s[44:45], -1, 0
	v_mov_b32_e32 v6, v15
	v_lshlrev_b64 v[5:6], 2, v[5:6]
	s_andn2_b64 s[40:41], s[40:41], exec
	v_add_co_u32_e32 v5, vcc, s24, v5
	v_addc_co_u32_e32 v6, vcc, v16, v6, vcc
	global_load_dword v15, v[5:6], off
	v_add_co_u32_e32 v3, vcc, 0x800, v3
	s_and_b64 s[44:45], s[44:45], exec
	v_add_u32_e32 v1, 0xfffffe00, v1
	v_addc_co_u32_e32 v4, vcc, 0, v4, vcc
	s_or_b64 s[40:41], s[40:41], s[44:45]
	s_mov_b32 s49, s46
	s_waitcnt vmcnt(0)
	v_sub_f32_e32 v14, v15, v14
	global_store_dword v[5:6], v14, off
.LBB1_23:                               ;   in Loop: Header=BB1_24 Depth=2
	s_or_b64 exec, exec, s[42:43]
	s_and_b64 s[42:43], exec, s[40:41]
	s_or_b64 s[38:39], s[42:43], s[38:39]
	s_andn2_b64 exec, exec, s[38:39]
	s_cbranch_execz .LBB1_51
.LBB1_24:                               ;   Parent Loop BB1_5 Depth=1
                                        ; =>  This Loop Header: Depth=2
                                        ;       Child Loop BB1_27 Depth 3
	v_add_u32_e32 v15, s49, v0
	v_cmp_lt_i32_e32 vcc, -1, v15
	s_or_b64 s[40:41], s[40:41], exec
	s_and_saveexec_b64 s[42:43], vcc
	s_cbranch_execz .LBB1_23
; %bb.25:                               ;   in Loop: Header=BB1_24 Depth=2
	v_mad_u64_u32 v[5:6], s[44:45], s18, v1, v[3:4]
	v_add_u32_e32 v16, s26, v15
	v_add_u32_e32 v17, 0xfffffdfd, v13
	v_mad_u64_u32 v[20:21], s[44:45], s19, v1, v[6:7]
	v_add_u32_e32 v18, 0xfffffdfe, v13
	v_add_u32_e32 v19, 0xfffffdff, v13
	v_mov_b32_e32 v6, v20
	v_add_u32_e32 v13, 0xfffffe00, v13
	v_mov_b32_e32 v14, 0
	s_mov_b32 s50, 0
	s_movk_i32 s51, 0x1800
	s_branch .LBB1_27
.LBB1_26:                               ;   in Loop: Header=BB1_27 Depth=3
	s_or_b64 exec, exec, s[44:45]
	s_add_i32 s50, s50, 4
	s_add_i32 s51, s51, 16
	v_add_co_u32_e32 v5, vcc, 16, v5
	s_cmpk_eq_i32 s50, 0x200
	v_addc_co_u32_e32 v6, vcc, 0, v6, vcc
	s_cbranch_scc1 .LBB1_22
.LBB1_27:                               ;   Parent Loop BB1_5 Depth=1
                                        ;     Parent Loop BB1_24 Depth=2
                                        ; =>    This Inner Loop Header: Depth=3
	v_cmp_ne_u32_e32 vcc, s50, v13
	s_add_i32 s52, s27, s50
	s_or_b64 s[44:45], s[22:23], vcc
	s_and_saveexec_b64 s[46:47], s[44:45]
	s_xor_b64 s[44:45], exec, s[46:47]
	s_cbranch_execz .LBB1_31
; %bb.28:                               ;   in Loop: Header=BB1_27 Depth=3
	s_add_i32 s46, s52, 0xfffffe00
	v_cmp_le_i32_e32 vcc, s46, v16
	s_and_saveexec_b64 s[46:47], vcc
	s_cbranch_execz .LBB1_30
; %bb.29:                               ;   in Loop: Header=BB1_27 Depth=3
	global_load_dword v20, v[5:6], off
	v_mov_b32_e32 v21, s51
	ds_read_b32 v21, v21
	s_waitcnt vmcnt(0) lgkmcnt(0)
	v_fmac_f32_e32 v14, v20, v21
.LBB1_30:                               ;   in Loop: Header=BB1_27 Depth=3
	s_or_b64 exec, exec, s[46:47]
.LBB1_31:                               ;   in Loop: Header=BB1_27 Depth=3
	s_andn2_saveexec_b64 s[44:45], s[44:45]
	s_cbranch_execz .LBB1_33
; %bb.32:                               ;   in Loop: Header=BB1_27 Depth=3
	v_mov_b32_e32 v20, s51
	ds_read_b32 v20, v20
	s_waitcnt lgkmcnt(0)
	v_add_f32_e32 v14, v14, v20
.LBB1_33:                               ;   in Loop: Header=BB1_27 Depth=3
	s_or_b64 exec, exec, s[44:45]
	v_cmp_ne_u32_e32 vcc, s50, v19
	s_or_b64 s[44:45], s[22:23], vcc
	s_and_saveexec_b64 s[46:47], s[44:45]
	s_xor_b64 s[44:45], exec, s[46:47]
	s_cbranch_execz .LBB1_37
; %bb.34:                               ;   in Loop: Header=BB1_27 Depth=3
	s_add_i32 s46, s52, 0xfffffe01
	v_cmp_le_i32_e32 vcc, s46, v16
	s_and_saveexec_b64 s[46:47], vcc
	s_cbranch_execz .LBB1_36
; %bb.35:                               ;   in Loop: Header=BB1_27 Depth=3
	global_load_dword v20, v[5:6], off offset:4
	v_mov_b32_e32 v21, s51
	ds_read_b32 v21, v21 offset:4
	s_waitcnt vmcnt(0) lgkmcnt(0)
	v_fmac_f32_e32 v14, v20, v21
.LBB1_36:                               ;   in Loop: Header=BB1_27 Depth=3
	s_or_b64 exec, exec, s[46:47]
.LBB1_37:                               ;   in Loop: Header=BB1_27 Depth=3
	s_andn2_saveexec_b64 s[44:45], s[44:45]
	s_cbranch_execz .LBB1_39
; %bb.38:                               ;   in Loop: Header=BB1_27 Depth=3
	v_mov_b32_e32 v20, s51
	ds_read_b32 v20, v20 offset:4
	s_waitcnt lgkmcnt(0)
	v_add_f32_e32 v14, v14, v20
.LBB1_39:                               ;   in Loop: Header=BB1_27 Depth=3
	s_or_b64 exec, exec, s[44:45]
	v_cmp_ne_u32_e32 vcc, s50, v18
	s_or_b64 s[44:45], s[22:23], vcc
	s_and_saveexec_b64 s[46:47], s[44:45]
	s_xor_b64 s[44:45], exec, s[46:47]
	s_cbranch_execz .LBB1_43
; %bb.40:                               ;   in Loop: Header=BB1_27 Depth=3
	s_add_i32 s46, s52, 0xfffffe02
	v_cmp_le_i32_e32 vcc, s46, v16
	s_and_saveexec_b64 s[46:47], vcc
	s_cbranch_execz .LBB1_42
; %bb.41:                               ;   in Loop: Header=BB1_27 Depth=3
	global_load_dword v20, v[5:6], off offset:8
	v_mov_b32_e32 v21, s51
	ds_read_b32 v21, v21 offset:8
	s_waitcnt vmcnt(0) lgkmcnt(0)
	v_fmac_f32_e32 v14, v20, v21
.LBB1_42:                               ;   in Loop: Header=BB1_27 Depth=3
	s_or_b64 exec, exec, s[46:47]
.LBB1_43:                               ;   in Loop: Header=BB1_27 Depth=3
	s_andn2_saveexec_b64 s[44:45], s[44:45]
	s_cbranch_execz .LBB1_45
; %bb.44:                               ;   in Loop: Header=BB1_27 Depth=3
	v_mov_b32_e32 v20, s51
	ds_read_b32 v20, v20 offset:8
	s_waitcnt lgkmcnt(0)
	v_add_f32_e32 v14, v14, v20
.LBB1_45:                               ;   in Loop: Header=BB1_27 Depth=3
	s_or_b64 exec, exec, s[44:45]
	v_cmp_ne_u32_e32 vcc, s50, v17
	s_or_b64 s[44:45], s[22:23], vcc
	s_and_saveexec_b64 s[46:47], s[44:45]
	s_xor_b64 s[44:45], exec, s[46:47]
	s_cbranch_execz .LBB1_49
; %bb.46:                               ;   in Loop: Header=BB1_27 Depth=3
	s_addk_i32 s52, 0xfe03
	v_cmp_le_i32_e32 vcc, s52, v16
	s_and_saveexec_b64 s[46:47], vcc
	s_cbranch_execz .LBB1_48
; %bb.47:                               ;   in Loop: Header=BB1_27 Depth=3
	global_load_dword v20, v[5:6], off offset:12
	v_mov_b32_e32 v21, s51
	ds_read_b32 v21, v21 offset:12
	s_waitcnt vmcnt(0) lgkmcnt(0)
	v_fmac_f32_e32 v14, v20, v21
.LBB1_48:                               ;   in Loop: Header=BB1_27 Depth=3
	s_or_b64 exec, exec, s[46:47]
.LBB1_49:                               ;   in Loop: Header=BB1_27 Depth=3
	s_andn2_saveexec_b64 s[44:45], s[44:45]
	s_cbranch_execz .LBB1_26
; %bb.50:                               ;   in Loop: Header=BB1_27 Depth=3
	v_mov_b32_e32 v20, s51
	ds_read_b32 v20, v20 offset:12
	s_waitcnt lgkmcnt(0)
	v_add_f32_e32 v14, v14, v20
	s_branch .LBB1_26
.LBB1_51:                               ;   in Loop: Header=BB1_5 Depth=1
	s_or_b64 exec, exec, s[38:39]
.LBB1_52:                               ;   in Loop: Header=BB1_5 Depth=1
	s_and_saveexec_b64 s[38:39], s[0:1]
	s_cbranch_execz .LBB1_4
; %bb.53:                               ;   in Loop: Header=BB1_5 Depth=1
	v_mad_u64_u32 v[3:4], s[0:1], s20, v12, 0
	v_mov_b32_e32 v1, v4
	v_mad_u64_u32 v[4:5], s[0:1], s21, v12, v[1:2]
	ds_read_b32 v1, v7
	v_mov_b32_e32 v5, s33
	v_lshlrev_b64 v[3:4], 2, v[3:4]
	v_add_co_u32_e32 v3, vcc, s24, v3
	v_addc_co_u32_e32 v4, vcc, v5, v4, vcc
	s_waitcnt lgkmcnt(0)
	global_store_dword v[3:4], v1, off
	s_branch .LBB1_4
.LBB1_54:
	s_mov_b64 s[0:1], 0
.LBB1_55:
	s_andn2_b64 vcc, exec, s[0:1]
	s_cbranch_vccnz .LBB1_108
; %bb.56:
	s_andn2_b64 vcc, exec, s[6:7]
	s_cbranch_vccnz .LBB1_108
; %bb.57:
	s_ashr_i32 s27, s26, 31
	s_lshl_b64 s[0:1], s[12:13], 2
	s_lshl_b64 s[2:3], s[26:27], 2
	s_add_u32 s38, s28, s2
	s_addc_u32 s39, s29, s3
	s_add_u32 s16, s38, s0
	s_addc_u32 s17, s39, s1
	;; [unrolled: 2-line block ×3, first 2 shown]
	s_lshl_b64 s[18:19], s[12:13], 11
	s_lshl_b64 s[22:23], s[12:13], 3
	s_add_u32 s27, s18, 0x800
	s_addc_u32 s42, s19, 0
	s_add_u32 s40, s0, -4
	s_addc_u32 s41, s1, -1
	s_add_u32 s2, s8, s2
	s_addc_u32 s3, s9, s3
	s_add_u32 s0, s2, s28
	v_mov_b32_e32 v1, 0x800
	s_addc_u32 s1, s3, s29
	v_lshl_or_b32 v9, v0, 2, v1
	v_mov_b32_e32 v2, s1
	v_mov_b32_e32 v1, s0
	v_or_b32_e32 v10, 0x200, v0
	v_mad_u64_u32 v[1:2], s[0:1], s40, v0, v[1:2]
	v_mad_u64_u32 v[3:4], s[0:1], s12, v10, 0
	s_add_u32 s38, s8, s38
	s_addc_u32 s39, s9, s39
	v_mad_u64_u32 v[5:6], s[0:1], s41, v0, v[2:3]
	v_mov_b32_e32 v2, v4
	v_mad_u64_u32 v[6:7], s[0:1], s13, v10, v[2:3]
	s_add_u32 s0, s2, s30
	s_addc_u32 s1, s3, s31
	v_mov_b32_e32 v4, v6
	v_lshlrev_b64 v[3:4], 2, v[3:4]
	s_add_u32 s0, s0, s28
	s_addc_u32 s1, s1, s29
	v_mov_b32_e32 v2, v5
	v_mov_b32_e32 v5, s1
	v_add_co_u32_e32 v3, vcc, s0, v3
	s_add_u32 s52, s18, 0xfffff800
	v_addc_co_u32_e32 v4, vcc, v5, v4, vcc
	s_addc_u32 s53, s19, -1
	s_mov_b32 s54, 0
	v_mov_b32_e32 v11, 0
	s_xor_b64 s[40:41], s[4:5], -1
	v_mov_b32_e32 v12, s19
	v_mov_b32_e32 v13, s42
	s_branch .LBB1_59
.LBB1_58:                               ;   in Loop: Header=BB1_59 Depth=1
	s_or_b64 exec, exec, s[42:43]
	v_add_co_u32_e32 v1, vcc, s18, v1
	s_add_u32 s16, s16, s18
	v_addc_co_u32_e32 v2, vcc, v2, v12, vcc
	s_addc_u32 s17, s17, s19
	v_add_co_u32_e32 v3, vcc, s27, v3
	s_add_u32 s38, s38, s18
	v_addc_co_u32_e32 v4, vcc, v4, v13, vcc
	s_addc_u32 s39, s39, s19
	v_add_u32_e32 v10, 0x200, v10
	s_and_b64 vcc, exec, s[2:3]
	s_mov_b32 s54, s55
	s_waitcnt vmcnt(0)
	s_barrier
	s_cbranch_vccnz .LBB1_108
.LBB1_59:                               ; =>This Loop Header: Depth=1
                                        ;     Child Loop BB1_63 Depth 2
                                        ;     Child Loop BB1_78 Depth 2
                                        ;       Child Loop BB1_81 Depth 3
	v_add_u32_e32 v14, s54, v0
	v_cmp_le_i32_e32 vcc, s25, v14
	v_cmp_gt_i32_e64 s[0:1], s25, v14
	s_and_saveexec_b64 s[42:43], s[0:1]
	s_cbranch_execz .LBB1_61
; %bb.60:                               ;   in Loop: Header=BB1_59 Depth=1
	v_mad_u64_u32 v[5:6], s[2:3], s20, v14, 0
	v_mad_u64_u32 v[6:7], s[2:3], s21, v14, v[6:7]
	v_mov_b32_e32 v7, s33
	v_lshlrev_b64 v[5:6], 2, v[5:6]
	v_add_co_u32_e64 v5, s[2:3], s24, v5
	v_addc_co_u32_e64 v6, s[2:3], v7, v6, s[2:3]
	global_load_dword v5, v[5:6], off
	s_waitcnt vmcnt(0)
	ds_write_b32 v9, v5
.LBB1_61:                               ;   in Loop: Header=BB1_59 Depth=1
	s_or_b64 exec, exec, s[42:43]
	v_mov_b32_e32 v6, v2
	v_subrev_u32_e32 v7, s26, v14
	s_mov_b32 s49, 0
	s_movk_i32 s48, 0x800
	s_xor_b64 s[42:43], vcc, -1
	s_mov_b64 s[46:47], s[38:39]
	v_mov_b32_e32 v5, v1
	s_mov_b64 s[44:45], s[16:17]
	s_waitcnt lgkmcnt(0)
	s_barrier
	s_branch .LBB1_63
.LBB1_62:                               ;   in Loop: Header=BB1_63 Depth=2
                                        ; implicit-def: $sgpr49
                                        ; implicit-def: $sgpr48
                                        ; implicit-def: $sgpr44_sgpr45
                                        ; implicit-def: $vgpr5_vgpr6
                                        ; implicit-def: $sgpr46_sgpr47
	s_cbranch_execnz .LBB1_74
.LBB1_63:                               ;   Parent Loop BB1_59 Depth=1
                                        ; =>  This Inner Loop Header: Depth=2
	s_add_i32 s50, s54, s49
	s_cmp_ge_i32 s50, s25
	s_cbranch_scc1 .LBB1_62
; %bb.64:                               ;   in Loop: Header=BB1_63 Depth=2
	v_cmp_eq_u32_e32 vcc, s49, v0
	s_and_b64 s[56:57], s[40:41], vcc
	s_and_saveexec_b64 s[2:3], s[56:57]
	s_cbranch_execz .LBB1_66
; %bb.65:                               ;   in Loop: Header=BB1_63 Depth=2
	s_add_u32 s56, s46, s30
	s_addc_u32 s57, s47, s31
	global_load_dword v8, v11, s[56:57]
	ds_read_b32 v15, v9
	s_waitcnt vmcnt(0) lgkmcnt(0)
	v_div_scale_f32 v16, s[56:57], v8, v8, v15
	v_div_scale_f32 v17, vcc, v15, v8, v15
	v_rcp_f32_e32 v18, v16
	v_fma_f32 v19, -v16, v18, 1.0
	v_fmac_f32_e32 v18, v19, v18
	v_mul_f32_e32 v19, v17, v18
	v_fma_f32 v20, -v16, v19, v17
	v_fmac_f32_e32 v19, v20, v18
	v_fma_f32 v16, -v16, v19, v17
	v_div_fmas_f32 v16, v16, v18, v19
	v_div_fixup_f32 v8, v16, v8, v15
	ds_write_b32 v9, v8
.LBB1_66:                               ;   in Loop: Header=BB1_63 Depth=2
	s_or_b64 exec, exec, s[2:3]
	v_cmp_lt_u32_e32 vcc, s49, v0
	v_cmp_ge_i32_e64 s[2:3], s50, v7
	s_and_b64 s[56:57], s[42:43], vcc
	s_and_b64 s[56:57], s[56:57], s[2:3]
	s_waitcnt lgkmcnt(0)
	s_barrier
	s_and_saveexec_b64 s[2:3], s[56:57]
	s_cbranch_execz .LBB1_68
; %bb.67:                               ;   in Loop: Header=BB1_63 Depth=2
	v_mov_b32_e32 v8, s31
	v_add_co_u32_e32 v15, vcc, s30, v5
	v_addc_co_u32_e32 v16, vcc, v6, v8, vcc
	global_load_dword v8, v[15:16], off
	v_mov_b32_e32 v15, s48
	ds_read_b32 v15, v15
	ds_read_b32 v16, v9
	s_waitcnt vmcnt(0) lgkmcnt(0)
	v_fma_f32 v8, -v8, v15, v16
	ds_write_b32 v9, v8
.LBB1_68:                               ;   in Loop: Header=BB1_63 Depth=2
	s_or_b64 exec, exec, s[2:3]
	s_add_i32 s50, s50, 1
	s_cmp_ge_i32 s50, s25
	s_cbranch_scc1 .LBB1_62
; %bb.69:                               ;   in Loop: Header=BB1_63 Depth=2
	s_add_i32 s49, s49, 1
	v_cmp_eq_u32_e32 vcc, s49, v0
	s_and_b64 s[56:57], s[40:41], vcc
	s_and_saveexec_b64 s[2:3], s[56:57]
	s_cbranch_execz .LBB1_71
; %bb.70:                               ;   in Loop: Header=BB1_63 Depth=2
	s_add_u32 s56, s44, s30
	s_addc_u32 s57, s45, s31
	global_load_dword v8, v11, s[56:57]
	ds_read_b32 v15, v9
	s_waitcnt vmcnt(0) lgkmcnt(0)
	v_div_scale_f32 v16, s[56:57], v8, v8, v15
	v_div_scale_f32 v17, vcc, v15, v8, v15
	v_rcp_f32_e32 v18, v16
	v_fma_f32 v19, -v16, v18, 1.0
	v_fmac_f32_e32 v18, v19, v18
	v_mul_f32_e32 v19, v17, v18
	v_fma_f32 v20, -v16, v19, v17
	v_fmac_f32_e32 v19, v20, v18
	v_fma_f32 v16, -v16, v19, v17
	v_div_fmas_f32 v16, v16, v18, v19
	v_div_fixup_f32 v8, v16, v8, v15
	ds_write_b32 v9, v8
.LBB1_71:                               ;   in Loop: Header=BB1_63 Depth=2
	s_or_b64 exec, exec, s[2:3]
	v_cmp_lt_u32_e32 vcc, s49, v0
	v_cmp_ge_i32_e64 s[2:3], s50, v7
	s_and_b64 s[50:51], s[42:43], vcc
	s_and_b64 s[50:51], s[50:51], s[2:3]
	s_waitcnt lgkmcnt(0)
	s_barrier
	s_and_saveexec_b64 s[2:3], s[50:51]
	s_cbranch_execz .LBB1_73
; %bb.72:                               ;   in Loop: Header=BB1_63 Depth=2
	v_mov_b32_e32 v8, s31
	v_add_co_u32_e32 v15, vcc, s30, v5
	v_addc_co_u32_e32 v16, vcc, v6, v8, vcc
	global_load_dword v8, v[15:16], off offset:4
	v_mov_b32_e32 v15, s48
	ds_read_b32 v15, v15 offset:4
	ds_read_b32 v16, v9
	s_waitcnt vmcnt(0) lgkmcnt(0)
	v_fma_f32 v8, -v8, v15, v16
	ds_write_b32 v9, v8
.LBB1_73:                               ;   in Loop: Header=BB1_63 Depth=2
	s_or_b64 exec, exec, s[2:3]
	s_add_i32 s48, s48, 8
	s_add_u32 s44, s44, s22
	s_addc_u32 s45, s45, s23
	s_add_u32 s46, s46, s22
	s_addc_u32 s47, s47, s23
	s_add_i32 s49, s49, 1
	v_add_co_u32_e32 v5, vcc, 8, v5
	s_cmpk_eq_i32 s49, 0x200
	v_addc_co_u32_e32 v6, vcc, 0, v6, vcc
	s_cselect_b64 s[2:3], -1, 0
	s_and_b64 vcc, exec, s[2:3]
	s_cbranch_vccz .LBB1_63
.LBB1_74:                               ;   in Loop: Header=BB1_59 Depth=1
	s_add_i32 s55, s54, 0x200
	s_cmp_ge_i32 s55, s25
	s_cselect_b64 s[2:3], -1, 0
	s_and_b64 vcc, exec, s[2:3]
	s_waitcnt lgkmcnt(0)
	s_barrier
	s_cbranch_vccnz .LBB1_106
; %bb.75:                               ;   in Loop: Header=BB1_59 Depth=1
	v_mad_i64_i32 v[5:6], s[42:43], v10, -4, v[3:4]
	s_mov_b64 s[42:43], 0
	v_mov_b32_e32 v15, v0
	s_mov_b32 s56, s55
                                        ; implicit-def: $sgpr44_sgpr45
	s_branch .LBB1_78
.LBB1_76:                               ;   in Loop: Header=BB1_78 Depth=2
	v_mad_u64_u32 v[7:8], s[48:49], s20, v17, 0
	s_addk_i32 s56, 0x200
	s_cmp_ge_i32 s56, s25
	v_mad_u64_u32 v[17:18], s[48:49], s21, v17, v[8:9]
	v_mov_b32_e32 v18, s33
	s_cselect_b64 s[48:49], -1, 0
	v_mov_b32_e32 v8, v17
	v_lshlrev_b64 v[7:8], 2, v[7:8]
	s_andn2_b64 s[44:45], s[44:45], exec
	v_add_co_u32_e32 v7, vcc, s24, v7
	v_addc_co_u32_e32 v8, vcc, v18, v8, vcc
	global_load_dword v17, v[7:8], off
	v_mov_b32_e32 v18, s53
	v_add_co_u32_e32 v5, vcc, s52, v5
	s_and_b64 s[48:49], s[48:49], exec
	v_addc_co_u32_e32 v6, vcc, v6, v18, vcc
	s_or_b64 s[44:45], s[44:45], s[48:49]
	s_waitcnt vmcnt(0)
	v_sub_f32_e32 v16, v17, v16
	global_store_dword v[7:8], v16, off
.LBB1_77:                               ;   in Loop: Header=BB1_78 Depth=2
	s_or_b64 exec, exec, s[46:47]
	s_and_b64 s[46:47], exec, s[44:45]
	s_or_b64 s[42:43], s[46:47], s[42:43]
	s_andn2_b64 exec, exec, s[42:43]
	s_cbranch_execz .LBB1_105
.LBB1_78:                               ;   Parent Loop BB1_59 Depth=1
                                        ; =>  This Loop Header: Depth=2
                                        ;       Child Loop BB1_81 Depth 3
	v_add_u32_e32 v17, s56, v0
	v_cmp_gt_i32_e32 vcc, s25, v17
	s_or_b64 s[44:45], s[44:45], exec
	s_and_saveexec_b64 s[46:47], vcc
	s_cbranch_execz .LBB1_77
; %bb.79:                               ;   in Loop: Header=BB1_78 Depth=2
	v_mov_b32_e32 v8, v6
	v_subrev_u32_e32 v18, s26, v17
	v_add_u32_e32 v19, 0x1fd, v15
	v_add_u32_e32 v20, 0x1fe, v15
	v_add_u32_e32 v21, 0x1ff, v15
	v_add_u32_e32 v15, 0x200, v15
	v_mov_b32_e32 v16, 0
	s_mov_b32 s57, 0
	s_movk_i32 s58, 0x800
	v_mov_b32_e32 v7, v5
	s_branch .LBB1_81
.LBB1_80:                               ;   in Loop: Header=BB1_81 Depth=3
	s_or_b64 exec, exec, s[48:49]
	s_add_i32 s57, s57, 4
	s_add_i32 s58, s58, 16
	v_add_co_u32_e32 v7, vcc, 16, v7
	s_cmpk_eq_i32 s57, 0x200
	v_addc_co_u32_e32 v8, vcc, 0, v8, vcc
	s_cbranch_scc1 .LBB1_76
.LBB1_81:                               ;   Parent Loop BB1_59 Depth=1
                                        ;     Parent Loop BB1_78 Depth=2
                                        ; =>    This Inner Loop Header: Depth=3
	v_cmp_ne_u32_e32 vcc, s57, v15
	s_add_i32 s59, s54, s57
	s_or_b64 s[48:49], s[40:41], vcc
	s_and_saveexec_b64 s[50:51], s[48:49]
	s_xor_b64 s[48:49], exec, s[50:51]
	s_cbranch_execz .LBB1_85
; %bb.82:                               ;   in Loop: Header=BB1_81 Depth=3
	s_cmp_lt_i32 s59, s25
	s_cselect_b64 s[50:51], -1, 0
	v_cmp_ge_i32_e32 vcc, s59, v18
	s_and_b64 s[60:61], s[50:51], vcc
	s_and_saveexec_b64 s[50:51], s[60:61]
	s_cbranch_execz .LBB1_84
; %bb.83:                               ;   in Loop: Header=BB1_81 Depth=3
	global_load_dword v22, v[7:8], off
	v_mov_b32_e32 v23, s58
	ds_read_b32 v23, v23
	s_waitcnt vmcnt(0) lgkmcnt(0)
	v_fmac_f32_e32 v16, v22, v23
.LBB1_84:                               ;   in Loop: Header=BB1_81 Depth=3
	s_or_b64 exec, exec, s[50:51]
.LBB1_85:                               ;   in Loop: Header=BB1_81 Depth=3
	s_andn2_saveexec_b64 s[48:49], s[48:49]
	s_cbranch_execz .LBB1_87
; %bb.86:                               ;   in Loop: Header=BB1_81 Depth=3
	v_mov_b32_e32 v22, s58
	ds_read_b32 v22, v22
	s_waitcnt lgkmcnt(0)
	v_add_f32_e32 v16, v16, v22
.LBB1_87:                               ;   in Loop: Header=BB1_81 Depth=3
	s_or_b64 exec, exec, s[48:49]
	v_cmp_ne_u32_e32 vcc, s57, v21
	s_or_b64 s[48:49], s[40:41], vcc
	s_and_saveexec_b64 s[50:51], s[48:49]
	s_xor_b64 s[48:49], exec, s[50:51]
	s_cbranch_execz .LBB1_91
; %bb.88:                               ;   in Loop: Header=BB1_81 Depth=3
	s_add_i32 s60, s59, 1
	s_cmp_lt_i32 s60, s25
	s_cselect_b64 s[50:51], -1, 0
	v_cmp_ge_i32_e32 vcc, s60, v18
	s_and_b64 s[60:61], s[50:51], vcc
	s_and_saveexec_b64 s[50:51], s[60:61]
	s_cbranch_execz .LBB1_90
; %bb.89:                               ;   in Loop: Header=BB1_81 Depth=3
	global_load_dword v22, v[7:8], off offset:4
	v_mov_b32_e32 v23, s58
	ds_read_b32 v23, v23 offset:4
	s_waitcnt vmcnt(0) lgkmcnt(0)
	v_fmac_f32_e32 v16, v22, v23
.LBB1_90:                               ;   in Loop: Header=BB1_81 Depth=3
	s_or_b64 exec, exec, s[50:51]
.LBB1_91:                               ;   in Loop: Header=BB1_81 Depth=3
	s_andn2_saveexec_b64 s[48:49], s[48:49]
	s_cbranch_execz .LBB1_93
; %bb.92:                               ;   in Loop: Header=BB1_81 Depth=3
	v_mov_b32_e32 v22, s58
	ds_read_b32 v22, v22 offset:4
	s_waitcnt lgkmcnt(0)
	v_add_f32_e32 v16, v16, v22
.LBB1_93:                               ;   in Loop: Header=BB1_81 Depth=3
	s_or_b64 exec, exec, s[48:49]
	v_cmp_ne_u32_e32 vcc, s57, v20
	s_or_b64 s[48:49], s[40:41], vcc
	s_and_saveexec_b64 s[50:51], s[48:49]
	s_xor_b64 s[48:49], exec, s[50:51]
	s_cbranch_execz .LBB1_97
; %bb.94:                               ;   in Loop: Header=BB1_81 Depth=3
	s_add_i32 s60, s59, 2
	s_cmp_lt_i32 s60, s25
	s_cselect_b64 s[50:51], -1, 0
	v_cmp_ge_i32_e32 vcc, s60, v18
	s_and_b64 s[60:61], s[50:51], vcc
	s_and_saveexec_b64 s[50:51], s[60:61]
	s_cbranch_execz .LBB1_96
; %bb.95:                               ;   in Loop: Header=BB1_81 Depth=3
	global_load_dword v22, v[7:8], off offset:8
	v_mov_b32_e32 v23, s58
	ds_read_b32 v23, v23 offset:8
	s_waitcnt vmcnt(0) lgkmcnt(0)
	v_fmac_f32_e32 v16, v22, v23
.LBB1_96:                               ;   in Loop: Header=BB1_81 Depth=3
	s_or_b64 exec, exec, s[50:51]
.LBB1_97:                               ;   in Loop: Header=BB1_81 Depth=3
	s_andn2_saveexec_b64 s[48:49], s[48:49]
	s_cbranch_execz .LBB1_99
; %bb.98:                               ;   in Loop: Header=BB1_81 Depth=3
	v_mov_b32_e32 v22, s58
	ds_read_b32 v22, v22 offset:8
	s_waitcnt lgkmcnt(0)
	v_add_f32_e32 v16, v16, v22
.LBB1_99:                               ;   in Loop: Header=BB1_81 Depth=3
	s_or_b64 exec, exec, s[48:49]
	v_cmp_ne_u32_e32 vcc, s57, v19
	s_or_b64 s[48:49], s[40:41], vcc
	s_and_saveexec_b64 s[50:51], s[48:49]
	s_xor_b64 s[48:49], exec, s[50:51]
	s_cbranch_execz .LBB1_103
; %bb.100:                              ;   in Loop: Header=BB1_81 Depth=3
	s_add_i32 s59, s59, 3
	s_cmp_lt_i32 s59, s25
	s_cselect_b64 s[50:51], -1, 0
	v_cmp_ge_i32_e32 vcc, s59, v18
	s_and_b64 s[60:61], s[50:51], vcc
	s_and_saveexec_b64 s[50:51], s[60:61]
	s_cbranch_execz .LBB1_102
; %bb.101:                              ;   in Loop: Header=BB1_81 Depth=3
	global_load_dword v22, v[7:8], off offset:12
	v_mov_b32_e32 v23, s58
	ds_read_b32 v23, v23 offset:12
	s_waitcnt vmcnt(0) lgkmcnt(0)
	v_fmac_f32_e32 v16, v22, v23
.LBB1_102:                              ;   in Loop: Header=BB1_81 Depth=3
	s_or_b64 exec, exec, s[50:51]
.LBB1_103:                              ;   in Loop: Header=BB1_81 Depth=3
	s_andn2_saveexec_b64 s[48:49], s[48:49]
	s_cbranch_execz .LBB1_80
; %bb.104:                              ;   in Loop: Header=BB1_81 Depth=3
	v_mov_b32_e32 v22, s58
	ds_read_b32 v22, v22 offset:12
	s_waitcnt lgkmcnt(0)
	v_add_f32_e32 v16, v16, v22
	s_branch .LBB1_80
.LBB1_105:                              ;   in Loop: Header=BB1_59 Depth=1
	s_or_b64 exec, exec, s[42:43]
.LBB1_106:                              ;   in Loop: Header=BB1_59 Depth=1
	s_and_saveexec_b64 s[42:43], s[0:1]
	s_cbranch_execz .LBB1_58
; %bb.107:                              ;   in Loop: Header=BB1_59 Depth=1
	v_mad_u64_u32 v[5:6], s[0:1], s20, v14, 0
	v_mov_b32_e32 v8, s33
	v_mad_u64_u32 v[6:7], s[0:1], s21, v14, v[6:7]
	ds_read_b32 v7, v9
	v_lshlrev_b64 v[5:6], 2, v[5:6]
	v_add_co_u32_e32 v5, vcc, s24, v5
	v_addc_co_u32_e32 v6, vcc, v8, v6, vcc
	s_waitcnt lgkmcnt(0)
	global_store_dword v[5:6], v7, off
	s_branch .LBB1_58
.LBB1_108:
	s_mov_b64 s[0:1], 0
.LBB1_109:
	s_andn2_b64 vcc, exec, s[0:1]
	s_cbranch_vccnz .LBB1_183
; %bb.110:
	s_mov_b64 s[0:1], -1
	s_and_b64 vcc, exec, s[36:37]
	s_cbranch_vccz .LBB1_147
; %bb.111:
	s_andn2_b64 vcc, exec, s[6:7]
	s_cbranch_vccnz .LBB1_146
; %bb.112:
	s_lshl_b64 s[16:17], s[12:13], 11
	s_lshl_b64 s[18:19], s[12:13], 2
	s_add_u32 s0, s28, s18
	s_addc_u32 s1, s29, s19
	s_add_u32 s0, s0, s30
	s_addc_u32 s1, s1, s31
	;; [unrolled: 2-line block ×3, first 2 shown]
	s_add_u32 s22, s0, -4
	s_addc_u32 s23, s1, -1
	s_lshl_b64 s[0:1], s[12:13], 3
	s_add_u32 s27, s0, -8
	v_lshlrev_b32_e32 v5, 2, v0
	v_or_b32_e32 v6, 0x200, v0
	s_addc_u32 s58, s1, -1
	s_mov_b32 s59, 0
	s_mov_b64 s[36:37], 0
	s_xor_b64 s[38:39], s[4:5], -1
	v_mov_b32_e32 v2, 0
	s_branch .LBB1_114
.LBB1_113:                              ;   in Loop: Header=BB1_114 Depth=1
	s_or_b64 exec, exec, s[40:41]
	s_add_u32 s34, s34, s16
	s_addc_u32 s35, s35, s17
	s_add_u32 s36, s36, 0xfffffe00
	s_addc_u32 s37, s37, -1
	s_add_u32 s22, s22, s16
	v_add_u32_e32 v6, 0x200, v6
	s_addc_u32 s23, s23, s17
	s_and_b64 vcc, exec, s[2:3]
	s_mov_b32 s59, s60
	s_waitcnt vmcnt(0)
	s_barrier
	s_cbranch_vccnz .LBB1_146
.LBB1_114:                              ; =>This Loop Header: Depth=1
                                        ;     Child Loop BB1_118 Depth 2
                                        ;     Child Loop BB1_128 Depth 2
                                        ;       Child Loop BB1_131 Depth 3
	v_add_u32_e32 v7, s59, v0
	v_cmp_le_i32_e32 vcc, s25, v7
	v_cmp_gt_i32_e64 s[0:1], s25, v7
	s_and_saveexec_b64 s[40:41], s[0:1]
	s_cbranch_execz .LBB1_116
; %bb.115:                              ;   in Loop: Header=BB1_114 Depth=1
	v_mad_u64_u32 v[3:4], s[2:3], s20, v7, 0
	v_mov_b32_e32 v1, v4
	v_mad_u64_u32 v[8:9], s[2:3], s21, v7, v[1:2]
	v_mov_b32_e32 v1, s33
	v_mov_b32_e32 v4, v8
	v_lshlrev_b64 v[3:4], 2, v[3:4]
	v_add_co_u32_e64 v3, s[2:3], s24, v3
	v_addc_co_u32_e64 v4, s[2:3], v1, v4, s[2:3]
	global_load_dword v1, v[3:4], off
	s_waitcnt vmcnt(0)
	ds_write_b32 v5, v1
.LBB1_116:                              ;   in Loop: Header=BB1_114 Depth=1
	s_or_b64 exec, exec, s[40:41]
	v_subrev_u32_e32 v3, s26, v7
	s_mov_b32 s44, 0
	s_xor_b64 s[40:41], vcc, -1
	s_mov_b64 s[42:43], s[34:35]
	v_mov_b32_e32 v1, v0
	s_mov_b32 s45, 0
	s_waitcnt lgkmcnt(0)
	s_barrier
	s_branch .LBB1_118
.LBB1_117:                              ;   in Loop: Header=BB1_118 Depth=2
	s_or_b64 exec, exec, s[2:3]
	s_add_i32 s45, s45, 1
	s_add_i32 s44, s44, 4
	s_add_u32 s42, s42, s18
	s_addc_u32 s43, s43, s19
	s_cmpk_eq_i32 s45, 0x200
	v_add_u32_e32 v1, -1, v1
	s_cselect_b64 s[2:3], -1, 0
	s_and_b64 vcc, exec, s[2:3]
	s_cbranch_vccnz .LBB1_124
.LBB1_118:                              ;   Parent Loop BB1_114 Depth=1
                                        ; =>  This Inner Loop Header: Depth=2
	s_add_i32 s46, s59, s45
	s_cmp_ge_i32 s46, s25
	s_cbranch_scc1 .LBB1_123
; %bb.119:                              ;   in Loop: Header=BB1_118 Depth=2
	v_cmp_eq_u32_e32 vcc, s45, v0
	s_and_b64 s[48:49], s[38:39], vcc
	s_and_saveexec_b64 s[2:3], s[48:49]
	s_cbranch_execz .LBB1_121
; %bb.120:                              ;   in Loop: Header=BB1_118 Depth=2
	global_load_dword v4, v2, s[42:43]
	ds_read_b32 v8, v5
	s_waitcnt vmcnt(0) lgkmcnt(0)
	v_div_scale_f32 v9, s[48:49], v4, v4, v8
	v_div_scale_f32 v10, vcc, v8, v4, v8
	v_rcp_f32_e32 v11, v9
	v_fma_f32 v12, -v9, v11, 1.0
	v_fmac_f32_e32 v11, v12, v11
	v_mul_f32_e32 v12, v10, v11
	v_fma_f32 v13, -v9, v12, v10
	v_fmac_f32_e32 v12, v13, v11
	v_fma_f32 v9, -v9, v12, v10
	v_div_fmas_f32 v9, v9, v11, v12
	v_div_fixup_f32 v4, v9, v4, v8
	ds_write_b32 v5, v4
.LBB1_121:                              ;   in Loop: Header=BB1_118 Depth=2
	s_or_b64 exec, exec, s[2:3]
	v_cmp_lt_u32_e32 vcc, s45, v0
	v_cmp_ge_i32_e64 s[2:3], s46, v3
	s_and_b64 s[46:47], s[40:41], vcc
	s_and_b64 s[46:47], s[46:47], s[2:3]
	s_waitcnt lgkmcnt(0)
	s_barrier
	s_and_saveexec_b64 s[2:3], s[46:47]
	s_cbranch_execz .LBB1_117
; %bb.122:                              ;   in Loop: Header=BB1_118 Depth=2
	v_lshlrev_b64 v[8:9], 2, v[1:2]
	v_mov_b32_e32 v4, s43
	v_add_co_u32_e32 v8, vcc, s42, v8
	v_addc_co_u32_e32 v9, vcc, v4, v9, vcc
	global_load_dword v4, v[8:9], off
	v_mov_b32_e32 v8, s44
	ds_read_b32 v8, v8
	ds_read_b32 v9, v5
	s_waitcnt vmcnt(0) lgkmcnt(0)
	v_fma_f32 v4, -v4, v8, v9
	ds_write_b32 v5, v4
	s_branch .LBB1_117
.LBB1_123:                              ;   in Loop: Header=BB1_118 Depth=2
                                        ; implicit-def: $sgpr45
                                        ; implicit-def: $sgpr44
                                        ; implicit-def: $sgpr42_sgpr43
	s_cbranch_execz .LBB1_118
.LBB1_124:                              ;   in Loop: Header=BB1_114 Depth=1
	s_add_i32 s60, s59, 0x200
	s_cmp_ge_i32 s60, s25
	s_cselect_b64 s[2:3], -1, 0
	s_and_b64 vcc, exec, s[2:3]
	s_waitcnt lgkmcnt(0)
	s_barrier
	s_cbranch_vccnz .LBB1_144
; %bb.125:                              ;   in Loop: Header=BB1_114 Depth=1
	v_ashrrev_i32_e32 v1, 31, v6
	v_mov_b32_e32 v4, s37
	v_add_co_u32_e32 v3, vcc, s36, v6
	v_addc_co_u32_e32 v4, vcc, v4, v1, vcc
	v_lshlrev_b64 v[3:4], 2, v[3:4]
	s_mov_b64 s[40:41], 0
	s_mov_b64 s[42:43], s[34:35]
	;; [unrolled: 1-line block ×3, first 2 shown]
	v_mov_b32_e32 v1, v0
	s_mov_b32 s61, s60
                                        ; implicit-def: $sgpr46_sgpr47
	s_branch .LBB1_128
.LBB1_126:                              ;   in Loop: Header=BB1_128 Depth=2
	v_mad_u64_u32 v[10:11], s[50:51], s20, v9, 0
	s_addk_i32 s61, 0x200
	s_add_u32 s44, s44, 0x800
	v_mad_u64_u32 v[11:12], s[50:51], s21, v9, v[11:12]
	v_mov_b32_e32 v12, s33
	s_addc_u32 s45, s45, 0
	v_lshlrev_b64 v[9:10], 2, v[10:11]
	s_add_u32 s42, s42, 0x800
	v_add_co_u32_e32 v9, vcc, s24, v9
	v_addc_co_u32_e32 v10, vcc, v12, v10, vcc
	global_load_dword v11, v[9:10], off
	s_addc_u32 s43, s43, 0
	s_cmp_ge_i32 s61, s25
	s_cselect_b64 s[50:51], -1, 0
	s_andn2_b64 s[46:47], s[46:47], exec
	s_and_b64 s[50:51], s[50:51], exec
	s_or_b64 s[46:47], s[46:47], s[50:51]
	s_waitcnt vmcnt(0)
	v_sub_f32_e32 v8, v11, v8
	global_store_dword v[9:10], v8, off
.LBB1_127:                              ;   in Loop: Header=BB1_128 Depth=2
	s_or_b64 exec, exec, s[48:49]
	s_and_b64 s[48:49], exec, s[46:47]
	s_or_b64 s[40:41], s[48:49], s[40:41]
	s_andn2_b64 exec, exec, s[40:41]
	s_cbranch_execz .LBB1_143
.LBB1_128:                              ;   Parent Loop BB1_114 Depth=1
                                        ; =>  This Loop Header: Depth=2
                                        ;       Child Loop BB1_131 Depth 3
	v_add_u32_e32 v9, s61, v0
	v_cmp_gt_i32_e32 vcc, s25, v9
	s_or_b64 s[46:47], s[46:47], exec
	s_and_saveexec_b64 s[48:49], vcc
	s_cbranch_execz .LBB1_127
; %bb.129:                              ;   in Loop: Header=BB1_128 Depth=2
	v_subrev_u32_e32 v10, s26, v9
	v_add_u32_e32 v11, 0x1ff, v1
	v_add_u32_e32 v1, 0x200, v1
	v_mov_b32_e32 v8, 0
	s_mov_b32 s62, 0
	s_mov_b64 s[50:51], s[42:43]
	s_mov_b64 s[52:53], s[44:45]
	s_mov_b32 s63, 0
	s_branch .LBB1_131
.LBB1_130:                              ;   in Loop: Header=BB1_131 Depth=3
	s_or_b64 exec, exec, s[54:55]
	s_add_i32 s63, s63, 2
	s_add_u32 s52, s52, s27
	s_addc_u32 s53, s53, s58
	s_add_i32 s62, s62, 8
	s_add_u32 s50, s50, s27
	s_addc_u32 s51, s51, s58
	s_cmpk_eq_i32 s63, 0x200
	s_cbranch_scc1 .LBB1_126
.LBB1_131:                              ;   Parent Loop BB1_114 Depth=1
                                        ;     Parent Loop BB1_128 Depth=2
                                        ; =>    This Inner Loop Header: Depth=3
	v_cmp_ne_u32_e32 vcc, s63, v1
	s_add_i32 s64, s59, s63
	s_or_b64 s[54:55], s[38:39], vcc
	s_and_saveexec_b64 s[56:57], s[54:55]
	s_xor_b64 s[54:55], exec, s[56:57]
	s_cbranch_execz .LBB1_135
; %bb.132:                              ;   in Loop: Header=BB1_131 Depth=3
	s_cmp_lt_i32 s64, s25
	s_cselect_b64 s[56:57], -1, 0
	v_cmp_ge_i32_e32 vcc, s64, v10
	s_and_b64 s[66:67], s[56:57], vcc
	s_and_saveexec_b64 s[56:57], s[66:67]
	s_cbranch_execz .LBB1_134
; %bb.133:                              ;   in Loop: Header=BB1_131 Depth=3
	v_mov_b32_e32 v13, s51
	v_add_co_u32_e32 v12, vcc, s50, v3
	v_addc_co_u32_e32 v13, vcc, v13, v4, vcc
	global_load_dword v12, v[12:13], off
	v_mov_b32_e32 v13, s62
	ds_read_b32 v13, v13
	s_waitcnt vmcnt(0) lgkmcnt(0)
	v_fmac_f32_e32 v8, v12, v13
.LBB1_134:                              ;   in Loop: Header=BB1_131 Depth=3
	s_or_b64 exec, exec, s[56:57]
.LBB1_135:                              ;   in Loop: Header=BB1_131 Depth=3
	s_andn2_saveexec_b64 s[54:55], s[54:55]
	s_cbranch_execz .LBB1_137
; %bb.136:                              ;   in Loop: Header=BB1_131 Depth=3
	v_mov_b32_e32 v12, s62
	ds_read_b32 v12, v12
	s_waitcnt lgkmcnt(0)
	v_add_f32_e32 v8, v8, v12
.LBB1_137:                              ;   in Loop: Header=BB1_131 Depth=3
	s_or_b64 exec, exec, s[54:55]
	v_cmp_ne_u32_e32 vcc, s63, v11
	s_or_b64 s[54:55], s[38:39], vcc
	s_and_saveexec_b64 s[56:57], s[54:55]
	s_xor_b64 s[54:55], exec, s[56:57]
	s_cbranch_execz .LBB1_141
; %bb.138:                              ;   in Loop: Header=BB1_131 Depth=3
	s_add_i32 s64, s64, 1
	s_cmp_lt_i32 s64, s25
	s_cselect_b64 s[56:57], -1, 0
	v_cmp_ge_i32_e32 vcc, s64, v10
	s_and_b64 s[64:65], s[56:57], vcc
	s_and_saveexec_b64 s[56:57], s[64:65]
	s_cbranch_execz .LBB1_140
; %bb.139:                              ;   in Loop: Header=BB1_131 Depth=3
	v_mov_b32_e32 v13, s53
	v_add_co_u32_e32 v12, vcc, s52, v3
	v_addc_co_u32_e32 v13, vcc, v13, v4, vcc
	global_load_dword v12, v[12:13], off
	v_mov_b32_e32 v13, s62
	ds_read_b32 v13, v13 offset:4
	s_waitcnt vmcnt(0) lgkmcnt(0)
	v_fmac_f32_e32 v8, v12, v13
.LBB1_140:                              ;   in Loop: Header=BB1_131 Depth=3
	s_or_b64 exec, exec, s[56:57]
.LBB1_141:                              ;   in Loop: Header=BB1_131 Depth=3
	s_andn2_saveexec_b64 s[54:55], s[54:55]
	s_cbranch_execz .LBB1_130
; %bb.142:                              ;   in Loop: Header=BB1_131 Depth=3
	v_mov_b32_e32 v12, s62
	ds_read_b32 v12, v12 offset:4
	s_waitcnt lgkmcnt(0)
	v_add_f32_e32 v8, v8, v12
	s_branch .LBB1_130
.LBB1_143:                              ;   in Loop: Header=BB1_114 Depth=1
	s_or_b64 exec, exec, s[40:41]
.LBB1_144:                              ;   in Loop: Header=BB1_114 Depth=1
	s_and_saveexec_b64 s[40:41], s[0:1]
	s_cbranch_execz .LBB1_113
; %bb.145:                              ;   in Loop: Header=BB1_114 Depth=1
	v_mad_u64_u32 v[3:4], s[0:1], s20, v7, 0
	v_mov_b32_e32 v1, v4
	v_mad_u64_u32 v[7:8], s[0:1], s21, v7, v[1:2]
	ds_read_b32 v1, v5
	v_mov_b32_e32 v8, s33
	v_mov_b32_e32 v4, v7
	v_lshlrev_b64 v[3:4], 2, v[3:4]
	v_add_co_u32_e32 v3, vcc, s24, v3
	v_addc_co_u32_e32 v4, vcc, v8, v4, vcc
	s_waitcnt lgkmcnt(0)
	global_store_dword v[3:4], v1, off
	s_branch .LBB1_113
.LBB1_146:
	s_mov_b64 s[0:1], 0
.LBB1_147:
	s_andn2_b64 vcc, exec, s[0:1]
	s_cbranch_vccnz .LBB1_183
; %bb.148:
	s_andn2_b64 vcc, exec, s[6:7]
	s_cbranch_vccnz .LBB1_183
; %bb.149:
	s_add_i32 s22, s25, 0xfffffe00
	s_add_i32 s6, s25, -1
	s_add_u32 s2, s28, s30
	s_addc_u32 s3, s29, s31
	s_ashr_i32 s27, s26, 31
	s_lshl_b64 s[0:1], s[26:27], 2
	s_add_u32 s2, s2, s0
	s_addc_u32 s3, s3, s1
	s_ashr_i32 s7, s6, 31
	s_lshl_b64 s[0:1], s[6:7], 2
	s_sub_u32 s0, s2, s0
	s_subb_u32 s1, s3, s1
	s_add_u32 s16, s8, s0
	s_addc_u32 s17, s9, s1
	s_lshl_b64 s[18:19], s[12:13], 2
	s_add_u32 s7, s18, 4
	s_addc_u32 s38, s19, 0
	s_add_u32 s0, s10, s14
	s_addc_u32 s1, s11, s15
	;; [unrolled: 2-line block ×3, first 2 shown]
	s_ashr_i32 s3, s25, 31
	s_mov_b32 s2, s25
	s_lshl_b64 s[0:1], s[0:1], 2
	s_lshl_b64 s[2:3], s[2:3], 2
	s_sub_u32 s0, s0, s2
	s_subb_u32 s1, s1, s3
	s_add_u32 s0, s8, s0
	s_addc_u32 s1, s9, s1
	s_add_u32 s8, s0, 0x7fc
	s_addc_u32 s9, s1, 0
	s_add_i32 s27, s25, 0xfffffe01
	s_add_u32 s39, s0, 0x800
	s_addc_u32 s40, s1, 0
	s_lshl_b64 s[0:1], s[12:13], 3
	v_mov_b32_e32 v1, 0x1000
	v_add_u32_e32 v2, s25, v0
	s_add_u32 s41, s0, -8
	v_lshl_or_b32 v8, v0, 2, v1
	v_add_u32_e32 v1, 0xfffffe00, v2
	v_add_u32_e32 v9, 0xfffffc00, v2
	s_addc_u32 s42, s1, -1
	v_mov_b32_e32 v3, 0
	s_xor_b64 s[4:5], s[4:5], -1
	s_branch .LBB1_151
.LBB1_150:                              ;   in Loop: Header=BB1_151 Depth=1
	s_or_b64 exec, exec, s[10:11]
	s_addk_i32 s6, 0xfe00
	s_add_u32 s16, s16, 0x800
	s_addc_u32 s17, s17, 0
	s_addk_i32 s25, 0xfe00
	s_add_u32 s8, s8, 0x800
	s_addc_u32 s9, s9, 0
	s_addk_i32 s27, 0xfe00
	s_add_u32 s39, s39, 0x800
	v_add_u32_e32 v1, 0xfffffe00, v1
	v_add_u32_e32 v9, 0xfffffe00, v9
	s_addc_u32 s40, s40, 0
	s_and_b64 vcc, exec, s[2:3]
	s_mov_b32 s22, s43
	s_waitcnt vmcnt(0)
	s_barrier
	s_cbranch_vccnz .LBB1_183
.LBB1_151:                              ; =>This Loop Header: Depth=1
                                        ;     Child Loop BB1_156 Depth 2
                                        ;     Child Loop BB1_165 Depth 2
                                        ;       Child Loop BB1_168 Depth 3
	v_add_u32_e32 v10, s22, v0
	v_cmp_gt_i32_e32 vcc, 0, v10
	v_cmp_lt_i32_e64 s[0:1], -1, v10
	s_and_saveexec_b64 s[10:11], s[0:1]
	s_cbranch_execz .LBB1_153
; %bb.152:                              ;   in Loop: Header=BB1_151 Depth=1
	v_mad_u64_u32 v[4:5], s[2:3], s20, v10, 0
	v_mov_b32_e32 v2, v5
	v_mad_u64_u32 v[5:6], s[2:3], s21, v10, v[2:3]
	v_mov_b32_e32 v2, s33
	v_lshlrev_b64 v[4:5], 2, v[4:5]
	v_add_co_u32_e64 v4, s[2:3], s24, v4
	v_addc_co_u32_e64 v5, s[2:3], v2, v5, s[2:3]
	global_load_dword v2, v[4:5], off
	s_waitcnt vmcnt(0)
	ds_write_b32 v8, v2
.LBB1_153:                              ;   in Loop: Header=BB1_151 Depth=1
	s_or_b64 exec, exec, s[10:11]
	v_mov_b32_e32 v2, v3
	v_lshlrev_b64 v[4:5], 2, v[1:2]
	v_mov_b32_e32 v2, s17
	v_add_co_u32_e64 v4, s[2:3], s16, v4
	v_mov_b32_e32 v6, s16
	v_addc_co_u32_e64 v5, s[2:3], v2, v5, s[2:3]
	v_add_u32_e32 v2, s26, v10
	s_movk_i32 s12, 0x1ff
	s_movk_i32 s13, 0x17fc
	v_mov_b32_e32 v7, s17
	s_xor_b64 s[10:11], vcc, -1
	s_mov_b32 s14, s6
	s_waitcnt lgkmcnt(0)
	s_barrier
	s_branch .LBB1_156
.LBB1_154:                              ;   in Loop: Header=BB1_156 Depth=2
	s_or_b64 exec, exec, s[2:3]
	v_add_co_u32_e32 v4, vcc, 4, v4
	s_add_i32 s12, s12, -1
	s_add_i32 s13, s13, -4
	v_addc_co_u32_e32 v5, vcc, 0, v5, vcc
	s_add_i32 s14, s14, -1
	v_add_co_u32_e32 v6, vcc, 4, v6
	s_cmp_eq_u32 s12, -1
	v_addc_co_u32_e32 v7, vcc, 0, v7, vcc
	s_cselect_b64 s[2:3], -1, 0
.LBB1_155:                              ;   in Loop: Header=BB1_156 Depth=2
	s_and_b64 vcc, exec, s[2:3]
	s_cbranch_vccnz .LBB1_161
.LBB1_156:                              ;   Parent Loop BB1_151 Depth=1
                                        ; =>  This Inner Loop Header: Depth=2
	s_add_i32 s15, s6, s12
	s_addk_i32 s15, 0xfe01
	s_cmp_lt_i32 s15, 0
	s_mov_b64 s[2:3], -1
	s_cbranch_scc1 .LBB1_155
; %bb.157:                              ;   in Loop: Header=BB1_156 Depth=2
	v_cmp_eq_u32_e32 vcc, s12, v0
	s_and_b64 s[28:29], s[4:5], vcc
	s_and_saveexec_b64 s[2:3], s[28:29]
	s_cbranch_execz .LBB1_159
; %bb.158:                              ;   in Loop: Header=BB1_156 Depth=2
	s_mul_i32 s23, s38, s14
	s_mul_hi_u32 s28, s7, s14
	s_add_i32 s23, s28, s23
	s_mul_i32 s28, s7, s14
	v_mov_b32_e32 v12, s23
	v_add_co_u32_e32 v11, vcc, s28, v6
	v_addc_co_u32_e32 v12, vcc, v7, v12, vcc
	global_load_dword v11, v[11:12], off
	ds_read_b32 v12, v8
	s_waitcnt vmcnt(0) lgkmcnt(0)
	v_div_scale_f32 v13, s[28:29], v11, v11, v12
	v_div_scale_f32 v14, vcc, v12, v11, v12
	v_rcp_f32_e32 v15, v13
	v_fma_f32 v16, -v13, v15, 1.0
	v_fmac_f32_e32 v15, v16, v15
	v_mul_f32_e32 v16, v14, v15
	v_fma_f32 v17, -v13, v16, v14
	v_fmac_f32_e32 v16, v17, v15
	v_fma_f32 v13, -v13, v16, v14
	v_div_fmas_f32 v13, v13, v15, v16
	v_div_fixup_f32 v11, v13, v11, v12
	ds_write_b32 v8, v11
.LBB1_159:                              ;   in Loop: Header=BB1_156 Depth=2
	s_or_b64 exec, exec, s[2:3]
	v_cmp_gt_u32_e32 vcc, s12, v0
	v_cmp_le_i32_e64 s[2:3], s15, v2
	s_and_b64 s[28:29], s[10:11], vcc
	s_and_b64 s[28:29], s[28:29], s[2:3]
	s_waitcnt lgkmcnt(0)
	s_barrier
	s_and_saveexec_b64 s[2:3], s[28:29]
	s_cbranch_execz .LBB1_154
; %bb.160:                              ;   in Loop: Header=BB1_156 Depth=2
	v_mov_b32_e32 v11, s14
	v_mad_u64_u32 v[11:12], s[28:29], s18, v11, v[4:5]
	s_mul_i32 s15, s19, s14
	v_add_u32_e32 v12, s15, v12
	global_load_dword v11, v[11:12], off
	v_mov_b32_e32 v12, s13
	ds_read_b32 v12, v12
	ds_read_b32 v13, v8
	s_waitcnt vmcnt(0) lgkmcnt(0)
	v_fma_f32 v11, -v11, v12, v13
	ds_write_b32 v8, v11
	s_branch .LBB1_154
.LBB1_161:                              ;   in Loop: Header=BB1_151 Depth=1
	s_add_i32 s43, s22, 0xfffffe00
	s_cmp_lt_i32 s22, 1
	s_cselect_b64 s[2:3], -1, 0
	s_and_b64 vcc, exec, s[2:3]
	s_waitcnt lgkmcnt(0)
	s_barrier
	s_cbranch_vccnz .LBB1_181
; %bb.162:                              ;   in Loop: Header=BB1_151 Depth=1
	s_mul_i32 s10, s19, s22
	s_mul_hi_u32 s11, s18, s22
	s_add_i32 s11, s11, s10
	s_mul_i32 s10, s18, s22
	s_add_u32 s10, s39, s10
	s_addc_u32 s11, s40, s11
	s_mov_b64 s[12:13], 0
	v_mov_b32_e32 v2, v9
	v_mov_b32_e32 v6, v0
	s_mov_b32 s44, s43
                                        ; implicit-def: $sgpr14_sgpr15
	s_branch .LBB1_165
.LBB1_163:                              ;   in Loop: Header=BB1_165 Depth=2
	v_mad_u64_u32 v[4:5], s[28:29], s20, v11, 0
	s_add_i32 s30, s44, 0xfffffe00
	s_cmp_lt_i32 s44, 1
	v_mad_u64_u32 v[11:12], s[28:29], s21, v11, v[5:6]
	v_mov_b32_e32 v12, s33
	s_cselect_b64 s[28:29], -1, 0
	v_mov_b32_e32 v5, v11
	v_lshlrev_b64 v[4:5], 2, v[4:5]
	s_andn2_b64 s[14:15], s[14:15], exec
	v_add_co_u32_e32 v4, vcc, s24, v4
	v_addc_co_u32_e32 v5, vcc, v12, v5, vcc
	global_load_dword v11, v[4:5], off
	s_and_b64 s[28:29], s[28:29], exec
	v_add_u32_e32 v2, 0xfffffe00, v2
	s_or_b64 s[14:15], s[14:15], s[28:29]
	s_mov_b32 s44, s30
	s_waitcnt vmcnt(0)
	v_sub_f32_e32 v7, v11, v7
	global_store_dword v[4:5], v7, off
.LBB1_164:                              ;   in Loop: Header=BB1_165 Depth=2
	s_or_b64 exec, exec, s[22:23]
	s_and_b64 s[22:23], exec, s[14:15]
	s_or_b64 s[12:13], s[22:23], s[12:13]
	s_andn2_b64 exec, exec, s[12:13]
	s_cbranch_execz .LBB1_180
.LBB1_165:                              ;   Parent Loop BB1_151 Depth=1
                                        ; =>  This Loop Header: Depth=2
                                        ;       Child Loop BB1_168 Depth 3
	v_add_u32_e32 v11, s44, v0
	v_cmp_lt_i32_e32 vcc, -1, v11
	s_or_b64 s[14:15], s[14:15], exec
	s_and_saveexec_b64 s[22:23], vcc
	s_cbranch_execz .LBB1_164
; %bb.166:                              ;   in Loop: Header=BB1_165 Depth=2
	v_lshlrev_b64 v[4:5], 2, v[2:3]
	v_add_u32_e32 v12, s26, v11
	v_add_u32_e32 v13, 0xfffffdff, v6
	;; [unrolled: 1-line block ×3, first 2 shown]
	v_mov_b32_e32 v7, 0
	s_mov_b32 s45, 0
	s_movk_i32 s46, 0x1000
	s_mov_b64 s[28:29], s[10:11]
	s_mov_b32 s47, s27
	s_mov_b64 s[30:31], s[8:9]
	s_branch .LBB1_168
.LBB1_167:                              ;   in Loop: Header=BB1_168 Depth=3
	s_or_b64 exec, exec, s[34:35]
	s_add_i32 s45, s45, 2
	s_add_i32 s46, s46, 8
	s_add_u32 s30, s30, -8
	s_addc_u32 s31, s31, -1
	s_add_i32 s47, s47, 2
	s_add_u32 s28, s28, s41
	s_addc_u32 s29, s29, s42
	s_cmpk_eq_i32 s45, 0x200
	s_cbranch_scc1 .LBB1_163
.LBB1_168:                              ;   Parent Loop BB1_151 Depth=1
                                        ;     Parent Loop BB1_165 Depth=2
                                        ; =>    This Inner Loop Header: Depth=3
	v_cmp_ne_u32_e32 vcc, s45, v6
	s_add_i32 s48, s25, s45
	s_or_b64 s[34:35], s[4:5], vcc
	s_and_saveexec_b64 s[36:37], s[34:35]
	s_xor_b64 s[34:35], exec, s[36:37]
	s_cbranch_execz .LBB1_172
; %bb.169:                              ;   in Loop: Header=BB1_168 Depth=3
	s_add_i32 s36, s48, 0xfffffe00
	v_cmp_le_i32_e32 vcc, s36, v12
	s_and_saveexec_b64 s[36:37], vcc
	s_cbranch_execz .LBB1_171
; %bb.170:                              ;   in Loop: Header=BB1_168 Depth=3
	v_mov_b32_e32 v15, s29
	v_add_co_u32_e32 v14, vcc, s28, v4
	v_addc_co_u32_e32 v15, vcc, v15, v5, vcc
	global_load_dword v14, v[14:15], off
	v_mov_b32_e32 v15, s46
	ds_read_b32 v15, v15
	s_waitcnt vmcnt(0) lgkmcnt(0)
	v_fmac_f32_e32 v7, v14, v15
.LBB1_171:                              ;   in Loop: Header=BB1_168 Depth=3
	s_or_b64 exec, exec, s[36:37]
.LBB1_172:                              ;   in Loop: Header=BB1_168 Depth=3
	s_andn2_saveexec_b64 s[34:35], s[34:35]
	s_cbranch_execz .LBB1_174
; %bb.173:                              ;   in Loop: Header=BB1_168 Depth=3
	v_mov_b32_e32 v14, s46
	ds_read_b32 v14, v14
	s_waitcnt lgkmcnt(0)
	v_add_f32_e32 v7, v7, v14
.LBB1_174:                              ;   in Loop: Header=BB1_168 Depth=3
	s_or_b64 exec, exec, s[34:35]
	v_cmp_ne_u32_e32 vcc, s45, v13
	s_or_b64 s[34:35], s[4:5], vcc
	s_and_saveexec_b64 s[36:37], s[34:35]
	s_xor_b64 s[34:35], exec, s[36:37]
	s_cbranch_execz .LBB1_178
; %bb.175:                              ;   in Loop: Header=BB1_168 Depth=3
	s_addk_i32 s48, 0xfe01
	v_cmp_le_i32_e32 vcc, s48, v12
	s_and_saveexec_b64 s[36:37], vcc
	s_cbranch_execz .LBB1_177
; %bb.176:                              ;   in Loop: Header=BB1_168 Depth=3
	s_mul_i32 s48, s19, s47
	s_mul_hi_u32 s49, s18, s47
	s_add_i32 s49, s49, s48
	s_mul_i32 s48, s18, s47
	s_add_u32 s48, s30, s48
	s_addc_u32 s49, s31, s49
	v_mov_b32_e32 v15, s49
	v_add_co_u32_e32 v14, vcc, s48, v4
	v_addc_co_u32_e32 v15, vcc, v15, v5, vcc
	global_load_dword v14, v[14:15], off
	v_mov_b32_e32 v15, s46
	ds_read_b32 v15, v15 offset:4
	s_waitcnt vmcnt(0) lgkmcnt(0)
	v_fmac_f32_e32 v7, v14, v15
.LBB1_177:                              ;   in Loop: Header=BB1_168 Depth=3
	s_or_b64 exec, exec, s[36:37]
.LBB1_178:                              ;   in Loop: Header=BB1_168 Depth=3
	s_andn2_saveexec_b64 s[34:35], s[34:35]
	s_cbranch_execz .LBB1_167
; %bb.179:                              ;   in Loop: Header=BB1_168 Depth=3
	v_mov_b32_e32 v14, s46
	ds_read_b32 v14, v14 offset:4
	s_waitcnt lgkmcnt(0)
	v_add_f32_e32 v7, v7, v14
	s_branch .LBB1_167
.LBB1_180:                              ;   in Loop: Header=BB1_151 Depth=1
	s_or_b64 exec, exec, s[12:13]
.LBB1_181:                              ;   in Loop: Header=BB1_151 Depth=1
	s_and_saveexec_b64 s[10:11], s[0:1]
	s_cbranch_execz .LBB1_150
; %bb.182:                              ;   in Loop: Header=BB1_151 Depth=1
	v_mad_u64_u32 v[4:5], s[0:1], s20, v10, 0
	v_mov_b32_e32 v2, v5
	v_mad_u64_u32 v[5:6], s[0:1], s21, v10, v[2:3]
	ds_read_b32 v2, v8
	v_mov_b32_e32 v6, s33
	v_lshlrev_b64 v[4:5], 2, v[4:5]
	v_add_co_u32_e32 v4, vcc, s24, v4
	v_addc_co_u32_e32 v5, vcc, v6, v5, vcc
	s_waitcnt lgkmcnt(0)
	global_store_dword v[4:5], v2, off
	s_branch .LBB1_150
.LBB1_183:
	s_endpgm
	.section	.rodata,"a",@progbits
	.p2align	6, 0x0
	.amdhsa_kernel _ZL19rocblas_tbsv_kernelILb0ELi512EPKfPfEv18rocblas_operation_bbiiT1_lllT2_lll
		.amdhsa_group_segment_fixed_size 8192
		.amdhsa_private_segment_fixed_size 0
		.amdhsa_kernarg_size 80
		.amdhsa_user_sgpr_count 6
		.amdhsa_user_sgpr_private_segment_buffer 1
		.amdhsa_user_sgpr_dispatch_ptr 0
		.amdhsa_user_sgpr_queue_ptr 0
		.amdhsa_user_sgpr_kernarg_segment_ptr 1
		.amdhsa_user_sgpr_dispatch_id 0
		.amdhsa_user_sgpr_flat_scratch_init 0
		.amdhsa_user_sgpr_private_segment_size 0
		.amdhsa_uses_dynamic_stack 0
		.amdhsa_system_sgpr_private_segment_wavefront_offset 0
		.amdhsa_system_sgpr_workgroup_id_x 1
		.amdhsa_system_sgpr_workgroup_id_y 0
		.amdhsa_system_sgpr_workgroup_id_z 0
		.amdhsa_system_sgpr_workgroup_info 0
		.amdhsa_system_vgpr_workitem_id 0
		.amdhsa_next_free_vgpr 24
		.amdhsa_next_free_sgpr 68
		.amdhsa_reserve_vcc 1
		.amdhsa_reserve_flat_scratch 0
		.amdhsa_float_round_mode_32 0
		.amdhsa_float_round_mode_16_64 0
		.amdhsa_float_denorm_mode_32 3
		.amdhsa_float_denorm_mode_16_64 3
		.amdhsa_dx10_clamp 1
		.amdhsa_ieee_mode 1
		.amdhsa_fp16_overflow 0
		.amdhsa_exception_fp_ieee_invalid_op 0
		.amdhsa_exception_fp_denorm_src 0
		.amdhsa_exception_fp_ieee_div_zero 0
		.amdhsa_exception_fp_ieee_overflow 0
		.amdhsa_exception_fp_ieee_underflow 0
		.amdhsa_exception_fp_ieee_inexact 0
		.amdhsa_exception_int_div_zero 0
	.end_amdhsa_kernel
	.section	.text._ZL19rocblas_tbsv_kernelILb0ELi512EPKfPfEv18rocblas_operation_bbiiT1_lllT2_lll,"axG",@progbits,_ZL19rocblas_tbsv_kernelILb0ELi512EPKfPfEv18rocblas_operation_bbiiT1_lllT2_lll,comdat
.Lfunc_end1:
	.size	_ZL19rocblas_tbsv_kernelILb0ELi512EPKfPfEv18rocblas_operation_bbiiT1_lllT2_lll, .Lfunc_end1-_ZL19rocblas_tbsv_kernelILb0ELi512EPKfPfEv18rocblas_operation_bbiiT1_lllT2_lll
                                        ; -- End function
	.set _ZL19rocblas_tbsv_kernelILb0ELi512EPKfPfEv18rocblas_operation_bbiiT1_lllT2_lll.num_vgpr, 24
	.set _ZL19rocblas_tbsv_kernelILb0ELi512EPKfPfEv18rocblas_operation_bbiiT1_lllT2_lll.num_agpr, 0
	.set _ZL19rocblas_tbsv_kernelILb0ELi512EPKfPfEv18rocblas_operation_bbiiT1_lllT2_lll.numbered_sgpr, 68
	.set _ZL19rocblas_tbsv_kernelILb0ELi512EPKfPfEv18rocblas_operation_bbiiT1_lllT2_lll.num_named_barrier, 0
	.set _ZL19rocblas_tbsv_kernelILb0ELi512EPKfPfEv18rocblas_operation_bbiiT1_lllT2_lll.private_seg_size, 0
	.set _ZL19rocblas_tbsv_kernelILb0ELi512EPKfPfEv18rocblas_operation_bbiiT1_lllT2_lll.uses_vcc, 1
	.set _ZL19rocblas_tbsv_kernelILb0ELi512EPKfPfEv18rocblas_operation_bbiiT1_lllT2_lll.uses_flat_scratch, 0
	.set _ZL19rocblas_tbsv_kernelILb0ELi512EPKfPfEv18rocblas_operation_bbiiT1_lllT2_lll.has_dyn_sized_stack, 0
	.set _ZL19rocblas_tbsv_kernelILb0ELi512EPKfPfEv18rocblas_operation_bbiiT1_lllT2_lll.has_recursion, 0
	.set _ZL19rocblas_tbsv_kernelILb0ELi512EPKfPfEv18rocblas_operation_bbiiT1_lllT2_lll.has_indirect_call, 0
	.section	.AMDGPU.csdata,"",@progbits
; Kernel info:
; codeLenInByte = 6420
; TotalNumSgprs: 72
; NumVgprs: 24
; ScratchSize: 0
; MemoryBound: 0
; FloatMode: 240
; IeeeMode: 1
; LDSByteSize: 8192 bytes/workgroup (compile time only)
; SGPRBlocks: 8
; VGPRBlocks: 5
; NumSGPRsForWavesPerEU: 72
; NumVGPRsForWavesPerEU: 24
; Occupancy: 10
; WaveLimiterHint : 0
; COMPUTE_PGM_RSRC2:SCRATCH_EN: 0
; COMPUTE_PGM_RSRC2:USER_SGPR: 6
; COMPUTE_PGM_RSRC2:TRAP_HANDLER: 0
; COMPUTE_PGM_RSRC2:TGID_X_EN: 1
; COMPUTE_PGM_RSRC2:TGID_Y_EN: 0
; COMPUTE_PGM_RSRC2:TGID_Z_EN: 0
; COMPUTE_PGM_RSRC2:TIDIG_COMP_CNT: 0
	.section	.text._ZL19rocblas_tbsv_kernelILb1ELi512EPKdPdEv18rocblas_operation_bbiiT1_lllT2_lll,"axG",@progbits,_ZL19rocblas_tbsv_kernelILb1ELi512EPKdPdEv18rocblas_operation_bbiiT1_lllT2_lll,comdat
	.globl	_ZL19rocblas_tbsv_kernelILb1ELi512EPKdPdEv18rocblas_operation_bbiiT1_lllT2_lll ; -- Begin function _ZL19rocblas_tbsv_kernelILb1ELi512EPKdPdEv18rocblas_operation_bbiiT1_lllT2_lll
	.p2align	8
	.type	_ZL19rocblas_tbsv_kernelILb1ELi512EPKdPdEv18rocblas_operation_bbiiT1_lllT2_lll,@function
_ZL19rocblas_tbsv_kernelILb1ELi512EPKdPdEv18rocblas_operation_bbiiT1_lllT2_lll: ; @_ZL19rocblas_tbsv_kernelILb1ELi512EPKdPdEv18rocblas_operation_bbiiT1_lllT2_lll
; %bb.0:
	s_load_dwordx2 s[0:1], s[4:5], 0x0
	s_load_dwordx4 s[24:27], s[4:5], 0x4
	s_load_dwordx16 s[8:23], s[4:5], 0x10
	s_waitcnt lgkmcnt(0)
	s_bitcmp1_b32 s1, 0
	s_cselect_b64 s[2:3], -1, 0
	s_xor_b64 s[36:37], s[2:3], -1
	s_bitcmp1_b32 s24, 8
	s_mul_i32 s1, s15, s6
	s_mul_hi_u32 s2, s14, s6
	s_cselect_b64 s[4:5], -1, 0
	s_add_i32 s15, s2, s1
	s_mul_i32 s14, s14, s6
	s_lshl_b64 s[28:29], s[14:15], 3
	s_add_u32 s1, s8, s28
	s_addc_u32 s2, s9, s29
	s_lshl_b64 s[30:31], s[10:11], 3
	s_add_u32 s34, s1, s30
	s_addc_u32 s35, s2, s31
	s_mul_i32 s1, s23, s6
	s_mul_hi_u32 s2, s22, s6
	s_add_i32 s3, s2, s1
	s_mul_i32 s2, s22, s6
	s_lshl_b64 s[2:3], s[2:3], 3
	s_add_u32 s1, s16, s2
	s_addc_u32 s6, s17, s3
	s_lshl_b64 s[2:3], s[18:19], 3
	s_add_u32 s24, s1, s2
	s_addc_u32 s33, s6, s3
	s_cmp_gt_i32 s25, 0
	s_cselect_b64 s[6:7], -1, 0
	s_cmpk_lg_i32 s0, 0x6f
	s_mov_b64 s[0:1], -1
	s_cbranch_scc0 .LBB2_99
; %bb.1:
	s_and_b64 vcc, exec, s[36:37]
	s_cbranch_vccz .LBB2_50
; %bb.2:
	s_andn2_b64 vcc, exec, s[6:7]
	s_cbranch_vccnz .LBB2_49
; %bb.3:
	s_add_i32 s40, s25, 0xfffffe00
	s_add_i32 s27, s25, -1
	s_add_u32 s2, s28, s30
	s_addc_u32 s3, s29, s31
	s_ashr_i32 s1, s25, 31
	s_mov_b32 s0, s25
	s_lshl_b64 s[0:1], s[0:1], 3
	s_add_u32 s0, s2, s0
	s_addc_u32 s1, s3, s1
	s_add_u32 s0, s8, s0
	v_mov_b32_e32 v1, 0x3000
	s_addc_u32 s1, s9, s1
	v_lshl_or_b32 v9, v0, 3, v1
	s_add_u32 s16, s0, 0xfffff000
	v_add_u32_e32 v1, s25, v0
	v_sub_u32_e32 v10, 0, v0
	s_addc_u32 s17, s1, -1
	v_add_u32_e32 v11, 0xfffffc00, v1
	s_lshl_b64 s[18:19], s[12:13], 3
	v_mov_b32_e32 v12, s35
	s_xor_b64 s[22:23], s[4:5], -1
	v_mov_b32_e32 v2, 0
	s_mov_b32 s48, s25
	s_branch .LBB2_5
.LBB2_4:                                ;   in Loop: Header=BB2_5 Depth=1
	s_or_b64 exec, exec, s[38:39]
	s_addk_i32 s27, 0xfe00
	s_addk_i32 s48, 0xfe00
	s_add_u32 s16, s16, 0xfffff000
	s_addc_u32 s17, s17, -1
	v_add_u32_e32 v11, 0xfffffe00, v11
	s_andn2_b64 vcc, exec, s[2:3]
	s_mov_b32 s40, s49
	s_waitcnt vmcnt(0)
	s_barrier
	s_cbranch_vccz .LBB2_49
.LBB2_5:                                ; =>This Loop Header: Depth=1
                                        ;     Child Loop BB2_10 Depth 2
                                        ;     Child Loop BB2_19 Depth 2
                                        ;       Child Loop BB2_22 Depth 3
	v_add_u32_e32 v13, s40, v0
	v_cmp_gt_i32_e32 vcc, 0, v13
	v_cmp_lt_i32_e64 s[0:1], -1, v13
	s_and_saveexec_b64 s[38:39], s[0:1]
	s_cbranch_execz .LBB2_7
; %bb.6:                                ;   in Loop: Header=BB2_5 Depth=1
	v_mad_u64_u32 v[3:4], s[2:3], s20, v13, 0
	v_mov_b32_e32 v1, v4
	v_mad_u64_u32 v[4:5], s[2:3], s21, v13, v[1:2]
	v_mov_b32_e32 v1, s33
	v_lshlrev_b64 v[3:4], 3, v[3:4]
	v_add_co_u32_e64 v3, s[2:3], s24, v3
	v_addc_co_u32_e64 v4, s[2:3], v1, v4, s[2:3]
	global_load_dwordx2 v[3:4], v[3:4], off
	s_waitcnt vmcnt(0)
	ds_write_b64 v9, v[3:4]
.LBB2_7:                                ;   in Loop: Header=BB2_5 Depth=1
	s_or_b64 exec, exec, s[38:39]
	v_ashrrev_i32_e32 v1, 31, v13
	v_mul_lo_u32 v6, s13, v13
	v_mul_lo_u32 v1, s12, v1
	v_mad_u64_u32 v[4:5], s[2:3], s12, v13, 0
	v_add_u32_e32 v3, s26, v13
	s_movk_i32 s41, 0x1ff
	v_add3_u32 v5, v5, v1, v6
	v_lshlrev_b64 v[4:5], 3, v[4:5]
	s_movk_i32 s42, 0x3ff8
	v_add_co_u32_e64 v4, s[2:3], s34, v4
	v_addc_co_u32_e64 v5, s[2:3], v12, v5, s[2:3]
	s_xor_b64 s[38:39], vcc, -1
	s_waitcnt lgkmcnt(0)
	s_barrier
	s_branch .LBB2_10
.LBB2_8:                                ;   in Loop: Header=BB2_10 Depth=2
	s_or_b64 exec, exec, s[2:3]
	s_add_i32 s41, s41, -1
	s_add_i32 s42, s42, -8
	s_cmp_eq_u32 s41, -1
	s_cselect_b64 s[2:3], -1, 0
.LBB2_9:                                ;   in Loop: Header=BB2_10 Depth=2
	s_and_b64 vcc, exec, s[2:3]
	s_cbranch_vccnz .LBB2_15
.LBB2_10:                               ;   Parent Loop BB2_5 Depth=1
                                        ; =>  This Inner Loop Header: Depth=2
	s_add_i32 s43, s27, s41
	s_addk_i32 s43, 0xfe01
	s_cmp_lt_i32 s43, 0
	s_mov_b64 s[2:3], -1
	s_cbranch_scc1 .LBB2_9
; %bb.11:                               ;   in Loop: Header=BB2_10 Depth=2
	v_add_u32_e32 v1, s41, v10
	v_cmp_eq_u32_e32 vcc, 0, v1
	s_and_b64 s[44:45], s[22:23], vcc
	s_and_saveexec_b64 s[2:3], s[44:45]
	s_cbranch_execz .LBB2_13
; %bb.12:                               ;   in Loop: Header=BB2_10 Depth=2
	s_mul_i32 s44, s13, s43
	s_mul_hi_u32 s45, s12, s43
	s_add_i32 s45, s45, s44
	s_mul_i32 s44, s12, s43
	s_lshl_b64 s[44:45], s[44:45], 3
	s_add_u32 s44, s34, s44
	s_addc_u32 s45, s35, s45
	global_load_dwordx2 v[6:7], v2, s[44:45]
	ds_read_b64 v[14:15], v9
	s_waitcnt vmcnt(0) lgkmcnt(0)
	v_div_scale_f64 v[16:17], s[44:45], v[6:7], v[6:7], v[14:15]
	v_div_scale_f64 v[22:23], vcc, v[14:15], v[6:7], v[14:15]
	v_rcp_f64_e32 v[18:19], v[16:17]
	v_fma_f64 v[20:21], -v[16:17], v[18:19], 1.0
	v_fma_f64 v[18:19], v[18:19], v[20:21], v[18:19]
	v_fma_f64 v[20:21], -v[16:17], v[18:19], 1.0
	v_fma_f64 v[18:19], v[18:19], v[20:21], v[18:19]
	v_mul_f64 v[20:21], v[22:23], v[18:19]
	v_fma_f64 v[16:17], -v[16:17], v[20:21], v[22:23]
	v_div_fmas_f64 v[16:17], v[16:17], v[18:19], v[20:21]
	v_div_fixup_f64 v[6:7], v[16:17], v[6:7], v[14:15]
	ds_write_b64 v9, v[6:7]
.LBB2_13:                               ;   in Loop: Header=BB2_10 Depth=2
	s_or_b64 exec, exec, s[2:3]
	v_cmp_gt_u32_e32 vcc, s41, v0
	v_cmp_le_i32_e64 s[2:3], s43, v3
	s_and_b64 s[44:45], s[38:39], vcc
	s_and_b64 s[44:45], s[44:45], s[2:3]
	s_waitcnt lgkmcnt(0)
	s_barrier
	s_and_saveexec_b64 s[2:3], s[44:45]
	s_cbranch_execz .LBB2_8
; %bb.14:                               ;   in Loop: Header=BB2_10 Depth=2
	v_lshlrev_b64 v[6:7], 3, v[1:2]
	v_mov_b32_e32 v1, s42
	v_add_co_u32_e32 v6, vcc, v4, v6
	v_addc_co_u32_e32 v7, vcc, v5, v7, vcc
	global_load_dwordx2 v[6:7], v[6:7], off
	ds_read_b64 v[14:15], v1
	ds_read_b64 v[16:17], v9
	s_waitcnt vmcnt(0) lgkmcnt(0)
	v_fma_f64 v[6:7], -v[6:7], v[14:15], v[16:17]
	ds_write_b64 v9, v[6:7]
	s_branch .LBB2_8
.LBB2_15:                               ;   in Loop: Header=BB2_5 Depth=1
	s_add_i32 s49, s40, 0xfffffe00
	s_cmp_lt_i32 s40, 1
	s_cselect_b64 s[2:3], -1, 0
	s_and_b64 vcc, exec, s[2:3]
	s_waitcnt lgkmcnt(0)
	s_barrier
	s_cbranch_vccnz .LBB2_47
; %bb.16:                               ;   in Loop: Header=BB2_5 Depth=1
	v_mad_i64_i32 v[3:4], s[38:39], v11, -8, s[16:17]
	s_mov_b64 s[38:39], 0
	v_mov_b32_e32 v1, v11
	v_mov_b32_e32 v14, v0
	s_mov_b32 s50, s49
                                        ; implicit-def: $sgpr40_sgpr41
	s_branch .LBB2_19
.LBB2_17:                               ;   in Loop: Header=BB2_19 Depth=2
	v_mad_u64_u32 v[7:8], s[44:45], s20, v15, 0
	s_add_i32 s46, s50, 0xfffffe00
	s_cmp_lt_i32 s50, 1
	v_mad_u64_u32 v[15:16], s[44:45], s21, v15, v[8:9]
	v_mov_b32_e32 v16, s33
	s_cselect_b64 s[44:45], -1, 0
	v_mov_b32_e32 v8, v15
	v_lshlrev_b64 v[7:8], 3, v[7:8]
	s_andn2_b64 s[40:41], s[40:41], exec
	v_add_co_u32_e32 v7, vcc, s24, v7
	v_addc_co_u32_e32 v8, vcc, v16, v8, vcc
	global_load_dwordx2 v[15:16], v[7:8], off
	v_add_co_u32_e32 v3, vcc, 0x1000, v3
	s_and_b64 s[44:45], s[44:45], exec
	v_add_u32_e32 v1, 0xfffffe00, v1
	v_addc_co_u32_e32 v4, vcc, 0, v4, vcc
	s_or_b64 s[40:41], s[40:41], s[44:45]
	s_mov_b32 s50, s46
	s_waitcnt vmcnt(0)
	v_add_f64 v[5:6], v[15:16], -v[5:6]
	global_store_dwordx2 v[7:8], v[5:6], off
.LBB2_18:                               ;   in Loop: Header=BB2_19 Depth=2
	s_or_b64 exec, exec, s[42:43]
	s_and_b64 s[42:43], exec, s[40:41]
	s_or_b64 s[38:39], s[42:43], s[38:39]
	s_andn2_b64 exec, exec, s[38:39]
	s_cbranch_execz .LBB2_46
.LBB2_19:                               ;   Parent Loop BB2_5 Depth=1
                                        ; =>  This Loop Header: Depth=2
                                        ;       Child Loop BB2_22 Depth 3
	v_add_u32_e32 v15, s50, v0
	v_cmp_lt_i32_e32 vcc, -1, v15
	s_or_b64 s[40:41], s[40:41], exec
	s_and_saveexec_b64 s[42:43], vcc
	s_cbranch_execz .LBB2_18
; %bb.20:                               ;   in Loop: Header=BB2_19 Depth=2
	v_mad_u64_u32 v[7:8], s[44:45], s18, v1, v[3:4]
	v_add_u32_e32 v16, s26, v15
	v_add_u32_e32 v17, 0xfffffdfd, v14
	v_mov_b32_e32 v5, v8
	v_mad_u64_u32 v[5:6], s[44:45], s19, v1, v[5:6]
	v_add_u32_e32 v18, 0xfffffdfe, v14
	v_add_u32_e32 v19, 0xfffffdff, v14
	v_mov_b32_e32 v8, v5
	v_mov_b32_e32 v5, 0
	v_add_u32_e32 v14, 0xfffffe00, v14
	v_mov_b32_e32 v6, 0
	s_mov_b32 s51, 0
	s_movk_i32 s52, 0x3000
	s_branch .LBB2_22
.LBB2_21:                               ;   in Loop: Header=BB2_22 Depth=3
	s_or_b64 exec, exec, s[44:45]
	s_add_i32 s51, s51, 4
	s_add_i32 s52, s52, 32
	v_add_co_u32_e32 v7, vcc, 32, v7
	s_cmpk_eq_i32 s51, 0x200
	v_addc_co_u32_e32 v8, vcc, 0, v8, vcc
	s_cbranch_scc1 .LBB2_17
.LBB2_22:                               ;   Parent Loop BB2_5 Depth=1
                                        ;     Parent Loop BB2_19 Depth=2
                                        ; =>    This Inner Loop Header: Depth=3
	v_cmp_ne_u32_e32 vcc, s51, v14
	s_add_i32 s53, s48, s51
	s_or_b64 s[44:45], s[22:23], vcc
	s_and_saveexec_b64 s[46:47], s[44:45]
	s_xor_b64 s[44:45], exec, s[46:47]
	s_cbranch_execz .LBB2_26
; %bb.23:                               ;   in Loop: Header=BB2_22 Depth=3
	s_add_i32 s46, s53, 0xfffffe00
	v_cmp_le_i32_e32 vcc, s46, v16
	s_and_saveexec_b64 s[46:47], vcc
	s_cbranch_execz .LBB2_25
; %bb.24:                               ;   in Loop: Header=BB2_22 Depth=3
	global_load_dwordx2 v[20:21], v[7:8], off
	v_mov_b32_e32 v22, s52
	ds_read_b64 v[22:23], v22
	s_waitcnt vmcnt(0) lgkmcnt(0)
	v_fma_f64 v[5:6], v[20:21], v[22:23], v[5:6]
.LBB2_25:                               ;   in Loop: Header=BB2_22 Depth=3
	s_or_b64 exec, exec, s[46:47]
.LBB2_26:                               ;   in Loop: Header=BB2_22 Depth=3
	s_andn2_saveexec_b64 s[44:45], s[44:45]
	s_cbranch_execz .LBB2_28
; %bb.27:                               ;   in Loop: Header=BB2_22 Depth=3
	v_mov_b32_e32 v20, s52
	ds_read_b64 v[20:21], v20
	s_waitcnt lgkmcnt(0)
	v_add_f64 v[5:6], v[5:6], v[20:21]
.LBB2_28:                               ;   in Loop: Header=BB2_22 Depth=3
	s_or_b64 exec, exec, s[44:45]
	v_cmp_ne_u32_e32 vcc, s51, v19
	s_or_b64 s[44:45], s[22:23], vcc
	s_and_saveexec_b64 s[46:47], s[44:45]
	s_xor_b64 s[44:45], exec, s[46:47]
	s_cbranch_execz .LBB2_32
; %bb.29:                               ;   in Loop: Header=BB2_22 Depth=3
	s_add_i32 s46, s53, 0xfffffe01
	v_cmp_le_i32_e32 vcc, s46, v16
	s_and_saveexec_b64 s[46:47], vcc
	s_cbranch_execz .LBB2_31
; %bb.30:                               ;   in Loop: Header=BB2_22 Depth=3
	global_load_dwordx2 v[20:21], v[7:8], off offset:8
	v_mov_b32_e32 v22, s52
	ds_read_b64 v[22:23], v22 offset:8
	s_waitcnt vmcnt(0) lgkmcnt(0)
	v_fma_f64 v[5:6], v[20:21], v[22:23], v[5:6]
.LBB2_31:                               ;   in Loop: Header=BB2_22 Depth=3
	s_or_b64 exec, exec, s[46:47]
.LBB2_32:                               ;   in Loop: Header=BB2_22 Depth=3
	s_andn2_saveexec_b64 s[44:45], s[44:45]
	s_cbranch_execz .LBB2_34
; %bb.33:                               ;   in Loop: Header=BB2_22 Depth=3
	v_mov_b32_e32 v20, s52
	ds_read_b64 v[20:21], v20 offset:8
	s_waitcnt lgkmcnt(0)
	v_add_f64 v[5:6], v[5:6], v[20:21]
.LBB2_34:                               ;   in Loop: Header=BB2_22 Depth=3
	s_or_b64 exec, exec, s[44:45]
	v_cmp_ne_u32_e32 vcc, s51, v18
	s_or_b64 s[44:45], s[22:23], vcc
	s_and_saveexec_b64 s[46:47], s[44:45]
	s_xor_b64 s[44:45], exec, s[46:47]
	s_cbranch_execz .LBB2_38
; %bb.35:                               ;   in Loop: Header=BB2_22 Depth=3
	s_add_i32 s46, s53, 0xfffffe02
	v_cmp_le_i32_e32 vcc, s46, v16
	s_and_saveexec_b64 s[46:47], vcc
	s_cbranch_execz .LBB2_37
; %bb.36:                               ;   in Loop: Header=BB2_22 Depth=3
	global_load_dwordx2 v[20:21], v[7:8], off offset:16
	v_mov_b32_e32 v22, s52
	ds_read_b64 v[22:23], v22 offset:16
	s_waitcnt vmcnt(0) lgkmcnt(0)
	v_fma_f64 v[5:6], v[20:21], v[22:23], v[5:6]
.LBB2_37:                               ;   in Loop: Header=BB2_22 Depth=3
	s_or_b64 exec, exec, s[46:47]
.LBB2_38:                               ;   in Loop: Header=BB2_22 Depth=3
	s_andn2_saveexec_b64 s[44:45], s[44:45]
	s_cbranch_execz .LBB2_40
; %bb.39:                               ;   in Loop: Header=BB2_22 Depth=3
	v_mov_b32_e32 v20, s52
	ds_read_b64 v[20:21], v20 offset:16
	s_waitcnt lgkmcnt(0)
	v_add_f64 v[5:6], v[5:6], v[20:21]
.LBB2_40:                               ;   in Loop: Header=BB2_22 Depth=3
	s_or_b64 exec, exec, s[44:45]
	v_cmp_ne_u32_e32 vcc, s51, v17
	s_or_b64 s[44:45], s[22:23], vcc
	s_and_saveexec_b64 s[46:47], s[44:45]
	s_xor_b64 s[44:45], exec, s[46:47]
	s_cbranch_execz .LBB2_44
; %bb.41:                               ;   in Loop: Header=BB2_22 Depth=3
	s_addk_i32 s53, 0xfe03
	v_cmp_le_i32_e32 vcc, s53, v16
	s_and_saveexec_b64 s[46:47], vcc
	s_cbranch_execz .LBB2_43
; %bb.42:                               ;   in Loop: Header=BB2_22 Depth=3
	global_load_dwordx2 v[20:21], v[7:8], off offset:24
	v_mov_b32_e32 v22, s52
	ds_read_b64 v[22:23], v22 offset:24
	s_waitcnt vmcnt(0) lgkmcnt(0)
	v_fma_f64 v[5:6], v[20:21], v[22:23], v[5:6]
.LBB2_43:                               ;   in Loop: Header=BB2_22 Depth=3
	s_or_b64 exec, exec, s[46:47]
.LBB2_44:                               ;   in Loop: Header=BB2_22 Depth=3
	s_andn2_saveexec_b64 s[44:45], s[44:45]
	s_cbranch_execz .LBB2_21
; %bb.45:                               ;   in Loop: Header=BB2_22 Depth=3
	v_mov_b32_e32 v20, s52
	ds_read_b64 v[20:21], v20 offset:24
	s_waitcnt lgkmcnt(0)
	v_add_f64 v[5:6], v[5:6], v[20:21]
	s_branch .LBB2_21
.LBB2_46:                               ;   in Loop: Header=BB2_5 Depth=1
	s_or_b64 exec, exec, s[38:39]
.LBB2_47:                               ;   in Loop: Header=BB2_5 Depth=1
	s_and_saveexec_b64 s[38:39], s[0:1]
	s_cbranch_execz .LBB2_4
; %bb.48:                               ;   in Loop: Header=BB2_5 Depth=1
	v_mad_u64_u32 v[3:4], s[0:1], s20, v13, 0
	v_mov_b32_e32 v1, v4
	v_mad_u64_u32 v[4:5], s[0:1], s21, v13, v[1:2]
	ds_read_b64 v[5:6], v9
	v_mov_b32_e32 v1, s33
	v_lshlrev_b64 v[3:4], 3, v[3:4]
	v_add_co_u32_e32 v3, vcc, s24, v3
	v_addc_co_u32_e32 v4, vcc, v1, v4, vcc
	s_waitcnt lgkmcnt(0)
	global_store_dwordx2 v[3:4], v[5:6], off
	s_branch .LBB2_4
.LBB2_49:
	s_mov_b64 s[0:1], 0
.LBB2_50:
	s_andn2_b64 vcc, exec, s[0:1]
	s_cbranch_vccnz .LBB2_98
; %bb.51:
	s_andn2_b64 vcc, exec, s[6:7]
	s_cbranch_vccnz .LBB2_98
; %bb.52:
	s_lshl_b64 s[16:17], s[12:13], 3
	s_add_u32 s18, s16, -8
	s_addc_u32 s22, s17, -1
	s_ashr_i32 s27, s26, 31
	s_lshl_b64 s[0:1], s[26:27], 3
	s_add_u32 s2, s8, s0
	s_addc_u32 s3, s9, s1
	s_add_u32 s2, s2, s30
	s_addc_u32 s3, s3, s31
	;; [unrolled: 2-line block ×3, first 2 shown]
	v_mov_b32_e32 v1, s2
	v_mov_b32_e32 v2, s3
	v_mad_u64_u32 v[1:2], s[18:19], s18, v0, v[1:2]
	v_or_b32_e32 v12, 0x200, v0
	s_mov_b32 s53, 0
	v_mad_u64_u32 v[2:3], s[18:19], s22, v0, v[2:3]
	v_mov_b32_e32 v3, 0x1000
	v_lshl_or_b32 v11, v0, 3, v3
	v_mad_u64_u32 v[3:4], s[22:23], s12, v12, 0
	s_lshl_b64 s[18:19], s[12:13], 12
	s_add_u32 s22, s28, s30
	s_addc_u32 s27, s29, s31
	s_add_u32 s0, s22, s0
	v_mad_u64_u32 v[4:5], s[22:23], s13, v12, v[4:5]
	s_addc_u32 s1, s27, s1
	s_add_u32 s22, s8, s0
	s_addc_u32 s23, s9, s1
	v_lshlrev_b64 v[3:4], 3, v[3:4]
	s_add_u32 s27, s18, 0x1000
	s_addc_u32 s50, s19, 0
	v_mov_b32_e32 v5, s3
	v_add_co_u32_e32 v3, vcc, s2, v3
	s_add_u32 s51, s18, 0xfffff000
	v_addc_co_u32_e32 v4, vcc, v5, v4, vcc
	s_addc_u32 s52, s19, -1
	s_xor_b64 s[38:39], s[4:5], -1
	s_branch .LBB2_54
.LBB2_53:                               ;   in Loop: Header=BB2_54 Depth=1
	s_or_b64 exec, exec, s[40:41]
	v_mov_b32_e32 v5, s19
	v_add_co_u32_e32 v1, vcc, s18, v1
	v_addc_co_u32_e32 v2, vcc, v2, v5, vcc
	v_mov_b32_e32 v5, s50
	v_add_co_u32_e32 v3, vcc, s27, v3
	s_add_u32 s22, s22, s18
	v_addc_co_u32_e32 v4, vcc, v4, v5, vcc
	s_addc_u32 s23, s23, s19
	v_add_u32_e32 v12, 0x200, v12
	s_and_b64 vcc, exec, s[2:3]
	s_mov_b32 s53, s54
	s_waitcnt vmcnt(0)
	s_barrier
	s_cbranch_vccnz .LBB2_98
.LBB2_54:                               ; =>This Loop Header: Depth=1
                                        ;     Child Loop BB2_59 Depth 2
                                        ;     Child Loop BB2_68 Depth 2
                                        ;       Child Loop BB2_71 Depth 3
	v_add_u32_e32 v13, s53, v0
	v_cmp_le_i32_e32 vcc, s25, v13
	v_cmp_gt_i32_e64 s[0:1], s25, v13
	s_and_saveexec_b64 s[40:41], s[0:1]
	s_cbranch_execz .LBB2_56
; %bb.55:                               ;   in Loop: Header=BB2_54 Depth=1
	v_mad_u64_u32 v[5:6], s[2:3], s20, v13, 0
	v_mad_u64_u32 v[6:7], s[2:3], s21, v13, v[6:7]
	v_mov_b32_e32 v7, s33
	v_lshlrev_b64 v[5:6], 3, v[5:6]
	v_add_co_u32_e64 v5, s[2:3], s24, v5
	v_addc_co_u32_e64 v6, s[2:3], v7, v6, s[2:3]
	global_load_dwordx2 v[5:6], v[5:6], off
	s_waitcnt vmcnt(0)
	ds_write_b64 v11, v[5:6]
.LBB2_56:                               ;   in Loop: Header=BB2_54 Depth=1
	s_or_b64 exec, exec, s[40:41]
	v_mov_b32_e32 v5, s22
	v_mov_b32_e32 v8, v2
	v_subrev_u32_e32 v9, s26, v13
	s_mov_b32 s42, 0
	s_movk_i32 s43, 0x1000
	v_mov_b32_e32 v6, s23
	s_xor_b64 s[40:41], vcc, -1
	v_mov_b32_e32 v7, v1
	s_waitcnt lgkmcnt(0)
	s_barrier
	s_branch .LBB2_59
.LBB2_57:                               ;   in Loop: Header=BB2_59 Depth=2
	s_or_b64 exec, exec, s[2:3]
	v_add_co_u32_e32 v7, vcc, 8, v7
	s_add_i32 s42, s42, 1
	s_add_i32 s43, s43, 8
	v_addc_co_u32_e32 v8, vcc, 0, v8, vcc
	v_mov_b32_e32 v10, s17
	v_add_co_u32_e32 v5, vcc, s16, v5
	s_cmpk_eq_i32 s42, 0x200
	v_addc_co_u32_e32 v6, vcc, v6, v10, vcc
	s_cselect_b64 s[2:3], -1, 0
.LBB2_58:                               ;   in Loop: Header=BB2_59 Depth=2
	s_and_b64 vcc, exec, s[2:3]
	s_cbranch_vccnz .LBB2_64
.LBB2_59:                               ;   Parent Loop BB2_54 Depth=1
                                        ; =>  This Inner Loop Header: Depth=2
	s_add_i32 s44, s53, s42
	s_cmp_ge_i32 s44, s25
	s_mov_b64 s[2:3], -1
	s_cbranch_scc1 .LBB2_58
; %bb.60:                               ;   in Loop: Header=BB2_59 Depth=2
	v_cmp_eq_u32_e32 vcc, s42, v0
	s_and_b64 s[46:47], s[38:39], vcc
	s_and_saveexec_b64 s[2:3], s[46:47]
	s_cbranch_execz .LBB2_62
; %bb.61:                               ;   in Loop: Header=BB2_59 Depth=2
	global_load_dwordx2 v[14:15], v[5:6], off
	ds_read_b64 v[16:17], v11
	s_waitcnt vmcnt(0) lgkmcnt(0)
	v_div_scale_f64 v[18:19], s[46:47], v[14:15], v[14:15], v[16:17]
	v_div_scale_f64 v[24:25], vcc, v[16:17], v[14:15], v[16:17]
	v_rcp_f64_e32 v[20:21], v[18:19]
	v_fma_f64 v[22:23], -v[18:19], v[20:21], 1.0
	v_fma_f64 v[20:21], v[20:21], v[22:23], v[20:21]
	v_fma_f64 v[22:23], -v[18:19], v[20:21], 1.0
	v_fma_f64 v[20:21], v[20:21], v[22:23], v[20:21]
	v_mul_f64 v[22:23], v[24:25], v[20:21]
	v_fma_f64 v[18:19], -v[18:19], v[22:23], v[24:25]
	v_div_fmas_f64 v[18:19], v[18:19], v[20:21], v[22:23]
	v_div_fixup_f64 v[14:15], v[18:19], v[14:15], v[16:17]
	ds_write_b64 v11, v[14:15]
.LBB2_62:                               ;   in Loop: Header=BB2_59 Depth=2
	s_or_b64 exec, exec, s[2:3]
	v_cmp_lt_u32_e32 vcc, s42, v0
	v_cmp_ge_i32_e64 s[2:3], s44, v9
	s_and_b64 s[44:45], s[40:41], vcc
	s_and_b64 s[44:45], s[44:45], s[2:3]
	s_waitcnt lgkmcnt(0)
	s_barrier
	s_and_saveexec_b64 s[2:3], s[44:45]
	s_cbranch_execz .LBB2_57
; %bb.63:                               ;   in Loop: Header=BB2_59 Depth=2
	global_load_dwordx2 v[14:15], v[7:8], off
	v_mov_b32_e32 v10, s43
	ds_read_b64 v[16:17], v10
	ds_read_b64 v[18:19], v11
	s_waitcnt vmcnt(0) lgkmcnt(0)
	v_fma_f64 v[14:15], -v[14:15], v[16:17], v[18:19]
	ds_write_b64 v11, v[14:15]
	s_branch .LBB2_57
.LBB2_64:                               ;   in Loop: Header=BB2_54 Depth=1
	s_add_i32 s54, s53, 0x200
	s_cmp_ge_i32 s54, s25
	s_cselect_b64 s[2:3], -1, 0
	s_and_b64 vcc, exec, s[2:3]
	s_waitcnt lgkmcnt(0)
	s_barrier
	s_cbranch_vccnz .LBB2_96
; %bb.65:                               ;   in Loop: Header=BB2_54 Depth=1
	v_mad_i64_i32 v[5:6], s[40:41], v12, -8, v[3:4]
	s_mov_b64 s[40:41], 0
	v_mov_b32_e32 v14, v0
	s_mov_b32 s55, s54
                                        ; implicit-def: $sgpr42_sgpr43
	s_branch .LBB2_68
.LBB2_66:                               ;   in Loop: Header=BB2_68 Depth=2
	v_mad_u64_u32 v[9:10], s[46:47], s20, v15, 0
	s_addk_i32 s55, 0x200
	s_cmp_ge_i32 s55, s25
	v_mad_u64_u32 v[15:16], s[46:47], s21, v15, v[10:11]
	v_mov_b32_e32 v16, s33
	s_cselect_b64 s[46:47], -1, 0
	v_mov_b32_e32 v10, v15
	v_lshlrev_b64 v[9:10], 3, v[9:10]
	v_mov_b32_e32 v17, s52
	v_add_co_u32_e32 v9, vcc, s24, v9
	v_addc_co_u32_e32 v10, vcc, v16, v10, vcc
	global_load_dwordx2 v[15:16], v[9:10], off
	v_add_co_u32_e32 v5, vcc, s51, v5
	s_andn2_b64 s[42:43], s[42:43], exec
	s_and_b64 s[46:47], s[46:47], exec
	v_addc_co_u32_e32 v6, vcc, v6, v17, vcc
	s_or_b64 s[42:43], s[42:43], s[46:47]
	s_waitcnt vmcnt(0)
	v_add_f64 v[7:8], v[15:16], -v[7:8]
	global_store_dwordx2 v[9:10], v[7:8], off
.LBB2_67:                               ;   in Loop: Header=BB2_68 Depth=2
	s_or_b64 exec, exec, s[44:45]
	s_and_b64 s[44:45], exec, s[42:43]
	s_or_b64 s[40:41], s[44:45], s[40:41]
	s_andn2_b64 exec, exec, s[40:41]
	s_cbranch_execz .LBB2_95
.LBB2_68:                               ;   Parent Loop BB2_54 Depth=1
                                        ; =>  This Loop Header: Depth=2
                                        ;       Child Loop BB2_71 Depth 3
	v_add_u32_e32 v15, s55, v0
	v_cmp_gt_i32_e32 vcc, s25, v15
	s_or_b64 s[42:43], s[42:43], exec
	s_and_saveexec_b64 s[44:45], vcc
	s_cbranch_execz .LBB2_67
; %bb.69:                               ;   in Loop: Header=BB2_68 Depth=2
	v_mov_b32_e32 v7, 0
	v_mov_b32_e32 v10, v6
	v_subrev_u32_e32 v16, s26, v15
	v_add_u32_e32 v17, 0x1fd, v14
	v_add_u32_e32 v18, 0x1fe, v14
	;; [unrolled: 1-line block ×4, first 2 shown]
	v_mov_b32_e32 v8, 0
	s_mov_b32 s56, 0
	s_movk_i32 s57, 0x1000
	v_mov_b32_e32 v9, v5
	s_branch .LBB2_71
.LBB2_70:                               ;   in Loop: Header=BB2_71 Depth=3
	s_or_b64 exec, exec, s[46:47]
	s_add_i32 s56, s56, 4
	s_add_i32 s57, s57, 32
	v_add_co_u32_e32 v9, vcc, 32, v9
	s_cmpk_eq_i32 s56, 0x200
	v_addc_co_u32_e32 v10, vcc, 0, v10, vcc
	s_cbranch_scc1 .LBB2_66
.LBB2_71:                               ;   Parent Loop BB2_54 Depth=1
                                        ;     Parent Loop BB2_68 Depth=2
                                        ; =>    This Inner Loop Header: Depth=3
	v_cmp_ne_u32_e32 vcc, s56, v14
	s_add_i32 s58, s53, s56
	s_or_b64 s[46:47], s[38:39], vcc
	s_and_saveexec_b64 s[48:49], s[46:47]
	s_xor_b64 s[46:47], exec, s[48:49]
	s_cbranch_execz .LBB2_75
; %bb.72:                               ;   in Loop: Header=BB2_71 Depth=3
	s_cmp_lt_i32 s58, s25
	s_cselect_b64 s[48:49], -1, 0
	v_cmp_ge_i32_e32 vcc, s58, v16
	s_and_b64 s[60:61], s[48:49], vcc
	s_and_saveexec_b64 s[48:49], s[60:61]
	s_cbranch_execz .LBB2_74
; %bb.73:                               ;   in Loop: Header=BB2_71 Depth=3
	global_load_dwordx2 v[20:21], v[9:10], off
	v_mov_b32_e32 v22, s57
	ds_read_b64 v[22:23], v22
	s_waitcnt vmcnt(0) lgkmcnt(0)
	v_fma_f64 v[7:8], v[20:21], v[22:23], v[7:8]
.LBB2_74:                               ;   in Loop: Header=BB2_71 Depth=3
	s_or_b64 exec, exec, s[48:49]
.LBB2_75:                               ;   in Loop: Header=BB2_71 Depth=3
	s_andn2_saveexec_b64 s[46:47], s[46:47]
	s_cbranch_execz .LBB2_77
; %bb.76:                               ;   in Loop: Header=BB2_71 Depth=3
	v_mov_b32_e32 v20, s57
	ds_read_b64 v[20:21], v20
	s_waitcnt lgkmcnt(0)
	v_add_f64 v[7:8], v[7:8], v[20:21]
.LBB2_77:                               ;   in Loop: Header=BB2_71 Depth=3
	s_or_b64 exec, exec, s[46:47]
	v_cmp_ne_u32_e32 vcc, s56, v19
	s_or_b64 s[46:47], s[38:39], vcc
	s_and_saveexec_b64 s[48:49], s[46:47]
	s_xor_b64 s[46:47], exec, s[48:49]
	s_cbranch_execz .LBB2_81
; %bb.78:                               ;   in Loop: Header=BB2_71 Depth=3
	s_add_i32 s59, s58, 1
	s_cmp_lt_i32 s59, s25
	s_cselect_b64 s[48:49], -1, 0
	v_cmp_ge_i32_e32 vcc, s59, v16
	s_and_b64 s[60:61], s[48:49], vcc
	s_and_saveexec_b64 s[48:49], s[60:61]
	s_cbranch_execz .LBB2_80
; %bb.79:                               ;   in Loop: Header=BB2_71 Depth=3
	global_load_dwordx2 v[20:21], v[9:10], off offset:8
	v_mov_b32_e32 v22, s57
	ds_read_b64 v[22:23], v22 offset:8
	s_waitcnt vmcnt(0) lgkmcnt(0)
	v_fma_f64 v[7:8], v[20:21], v[22:23], v[7:8]
.LBB2_80:                               ;   in Loop: Header=BB2_71 Depth=3
	s_or_b64 exec, exec, s[48:49]
.LBB2_81:                               ;   in Loop: Header=BB2_71 Depth=3
	s_andn2_saveexec_b64 s[46:47], s[46:47]
	s_cbranch_execz .LBB2_83
; %bb.82:                               ;   in Loop: Header=BB2_71 Depth=3
	v_mov_b32_e32 v20, s57
	ds_read_b64 v[20:21], v20 offset:8
	s_waitcnt lgkmcnt(0)
	v_add_f64 v[7:8], v[7:8], v[20:21]
.LBB2_83:                               ;   in Loop: Header=BB2_71 Depth=3
	s_or_b64 exec, exec, s[46:47]
	v_cmp_ne_u32_e32 vcc, s56, v18
	s_or_b64 s[46:47], s[38:39], vcc
	s_and_saveexec_b64 s[48:49], s[46:47]
	s_xor_b64 s[46:47], exec, s[48:49]
	s_cbranch_execz .LBB2_87
; %bb.84:                               ;   in Loop: Header=BB2_71 Depth=3
	s_add_i32 s59, s58, 2
	s_cmp_lt_i32 s59, s25
	s_cselect_b64 s[48:49], -1, 0
	v_cmp_ge_i32_e32 vcc, s59, v16
	s_and_b64 s[60:61], s[48:49], vcc
	s_and_saveexec_b64 s[48:49], s[60:61]
	s_cbranch_execz .LBB2_86
; %bb.85:                               ;   in Loop: Header=BB2_71 Depth=3
	global_load_dwordx2 v[20:21], v[9:10], off offset:16
	v_mov_b32_e32 v22, s57
	ds_read_b64 v[22:23], v22 offset:16
	s_waitcnt vmcnt(0) lgkmcnt(0)
	v_fma_f64 v[7:8], v[20:21], v[22:23], v[7:8]
.LBB2_86:                               ;   in Loop: Header=BB2_71 Depth=3
	s_or_b64 exec, exec, s[48:49]
.LBB2_87:                               ;   in Loop: Header=BB2_71 Depth=3
	s_andn2_saveexec_b64 s[46:47], s[46:47]
	s_cbranch_execz .LBB2_89
; %bb.88:                               ;   in Loop: Header=BB2_71 Depth=3
	v_mov_b32_e32 v20, s57
	ds_read_b64 v[20:21], v20 offset:16
	s_waitcnt lgkmcnt(0)
	v_add_f64 v[7:8], v[7:8], v[20:21]
.LBB2_89:                               ;   in Loop: Header=BB2_71 Depth=3
	s_or_b64 exec, exec, s[46:47]
	v_cmp_ne_u32_e32 vcc, s56, v17
	s_or_b64 s[46:47], s[38:39], vcc
	s_and_saveexec_b64 s[48:49], s[46:47]
	s_xor_b64 s[46:47], exec, s[48:49]
	s_cbranch_execz .LBB2_93
; %bb.90:                               ;   in Loop: Header=BB2_71 Depth=3
	s_add_i32 s58, s58, 3
	s_cmp_lt_i32 s58, s25
	s_cselect_b64 s[48:49], -1, 0
	v_cmp_ge_i32_e32 vcc, s58, v16
	s_and_b64 s[58:59], s[48:49], vcc
	s_and_saveexec_b64 s[48:49], s[58:59]
	s_cbranch_execz .LBB2_92
; %bb.91:                               ;   in Loop: Header=BB2_71 Depth=3
	global_load_dwordx2 v[20:21], v[9:10], off offset:24
	v_mov_b32_e32 v22, s57
	ds_read_b64 v[22:23], v22 offset:24
	s_waitcnt vmcnt(0) lgkmcnt(0)
	v_fma_f64 v[7:8], v[20:21], v[22:23], v[7:8]
.LBB2_92:                               ;   in Loop: Header=BB2_71 Depth=3
	s_or_b64 exec, exec, s[48:49]
.LBB2_93:                               ;   in Loop: Header=BB2_71 Depth=3
	s_andn2_saveexec_b64 s[46:47], s[46:47]
	s_cbranch_execz .LBB2_70
; %bb.94:                               ;   in Loop: Header=BB2_71 Depth=3
	v_mov_b32_e32 v20, s57
	ds_read_b64 v[20:21], v20 offset:24
	s_waitcnt lgkmcnt(0)
	v_add_f64 v[7:8], v[7:8], v[20:21]
	s_branch .LBB2_70
.LBB2_95:                               ;   in Loop: Header=BB2_54 Depth=1
	s_or_b64 exec, exec, s[40:41]
.LBB2_96:                               ;   in Loop: Header=BB2_54 Depth=1
	s_and_saveexec_b64 s[40:41], s[0:1]
	s_cbranch_execz .LBB2_53
; %bb.97:                               ;   in Loop: Header=BB2_54 Depth=1
	v_mad_u64_u32 v[5:6], s[0:1], s20, v13, 0
	v_mov_b32_e32 v9, s33
	v_mad_u64_u32 v[6:7], s[0:1], s21, v13, v[6:7]
	ds_read_b64 v[7:8], v11
	v_lshlrev_b64 v[5:6], 3, v[5:6]
	v_add_co_u32_e32 v5, vcc, s24, v5
	v_addc_co_u32_e32 v6, vcc, v9, v6, vcc
	s_waitcnt lgkmcnt(0)
	global_store_dwordx2 v[5:6], v[7:8], off
	s_branch .LBB2_53
.LBB2_98:
	s_mov_b64 s[0:1], 0
.LBB2_99:
	s_andn2_b64 vcc, exec, s[0:1]
	s_cbranch_vccnz .LBB2_173
; %bb.100:
	s_mov_b64 s[0:1], -1
	s_and_b64 vcc, exec, s[36:37]
	s_cbranch_vccz .LBB2_137
; %bb.101:
	s_andn2_b64 vcc, exec, s[6:7]
	s_cbranch_vccnz .LBB2_136
; %bb.102:
	s_lshl_b64 s[16:17], s[12:13], 12
	s_lshl_b64 s[18:19], s[12:13], 3
	s_add_u32 s0, s28, s18
	s_addc_u32 s1, s29, s19
	s_add_u32 s0, s0, s30
	s_addc_u32 s1, s1, s31
	;; [unrolled: 2-line block ×3, first 2 shown]
	s_add_u32 s22, s0, -8
	s_addc_u32 s23, s1, -1
	s_lshl_b64 s[0:1], s[12:13], 4
	s_add_u32 s27, s0, -16
	v_lshlrev_b32_e32 v7, 3, v0
	v_or_b32_e32 v8, 0x200, v0
	s_addc_u32 s58, s1, -1
	s_mov_b32 s59, 0
	s_mov_b64 s[36:37], 0
	s_xor_b64 s[38:39], s[4:5], -1
	v_mov_b32_e32 v2, 0
	s_branch .LBB2_104
.LBB2_103:                              ;   in Loop: Header=BB2_104 Depth=1
	s_or_b64 exec, exec, s[40:41]
	s_add_u32 s34, s34, s16
	s_addc_u32 s35, s35, s17
	s_add_u32 s36, s36, 0xfffffe00
	s_addc_u32 s37, s37, -1
	s_add_u32 s22, s22, s16
	v_add_u32_e32 v8, 0x200, v8
	s_addc_u32 s23, s23, s17
	s_and_b64 vcc, exec, s[2:3]
	s_mov_b32 s59, s60
	s_waitcnt vmcnt(0)
	s_barrier
	s_cbranch_vccnz .LBB2_136
.LBB2_104:                              ; =>This Loop Header: Depth=1
                                        ;     Child Loop BB2_108 Depth 2
                                        ;     Child Loop BB2_118 Depth 2
                                        ;       Child Loop BB2_121 Depth 3
	v_add_u32_e32 v9, s59, v0
	v_cmp_le_i32_e32 vcc, s25, v9
	v_cmp_gt_i32_e64 s[0:1], s25, v9
	s_and_saveexec_b64 s[40:41], s[0:1]
	s_cbranch_execz .LBB2_106
; %bb.105:                              ;   in Loop: Header=BB2_104 Depth=1
	v_mad_u64_u32 v[3:4], s[2:3], s20, v9, 0
	v_mov_b32_e32 v1, v4
	v_mad_u64_u32 v[4:5], s[2:3], s21, v9, v[1:2]
	v_mov_b32_e32 v1, s33
	v_lshlrev_b64 v[3:4], 3, v[3:4]
	v_add_co_u32_e64 v3, s[2:3], s24, v3
	v_addc_co_u32_e64 v4, s[2:3], v1, v4, s[2:3]
	global_load_dwordx2 v[3:4], v[3:4], off
	s_waitcnt vmcnt(0)
	ds_write_b64 v7, v[3:4]
.LBB2_106:                              ;   in Loop: Header=BB2_104 Depth=1
	s_or_b64 exec, exec, s[40:41]
	v_subrev_u32_e32 v3, s26, v9
	s_mov_b32 s44, 0
	s_xor_b64 s[40:41], vcc, -1
	s_mov_b64 s[42:43], s[34:35]
	v_mov_b32_e32 v1, v0
	s_mov_b32 s45, 0
	s_waitcnt lgkmcnt(0)
	s_barrier
	s_branch .LBB2_108
.LBB2_107:                              ;   in Loop: Header=BB2_108 Depth=2
	s_or_b64 exec, exec, s[2:3]
	s_add_i32 s45, s45, 1
	s_add_i32 s44, s44, 8
	s_add_u32 s42, s42, s18
	s_addc_u32 s43, s43, s19
	s_cmpk_eq_i32 s45, 0x200
	v_add_u32_e32 v1, -1, v1
	s_cselect_b64 s[2:3], -1, 0
	s_and_b64 vcc, exec, s[2:3]
	s_cbranch_vccnz .LBB2_114
.LBB2_108:                              ;   Parent Loop BB2_104 Depth=1
                                        ; =>  This Inner Loop Header: Depth=2
	s_add_i32 s46, s59, s45
	s_cmp_ge_i32 s46, s25
	s_cbranch_scc1 .LBB2_113
; %bb.109:                              ;   in Loop: Header=BB2_108 Depth=2
	v_cmp_eq_u32_e32 vcc, s45, v0
	s_and_b64 s[48:49], s[38:39], vcc
	s_and_saveexec_b64 s[2:3], s[48:49]
	s_cbranch_execz .LBB2_111
; %bb.110:                              ;   in Loop: Header=BB2_108 Depth=2
	global_load_dwordx2 v[4:5], v2, s[42:43]
	ds_read_b64 v[10:11], v7
	s_waitcnt vmcnt(0) lgkmcnt(0)
	v_div_scale_f64 v[12:13], s[48:49], v[4:5], v[4:5], v[10:11]
	v_div_scale_f64 v[18:19], vcc, v[10:11], v[4:5], v[10:11]
	v_rcp_f64_e32 v[14:15], v[12:13]
	v_fma_f64 v[16:17], -v[12:13], v[14:15], 1.0
	v_fma_f64 v[14:15], v[14:15], v[16:17], v[14:15]
	v_fma_f64 v[16:17], -v[12:13], v[14:15], 1.0
	v_fma_f64 v[14:15], v[14:15], v[16:17], v[14:15]
	v_mul_f64 v[16:17], v[18:19], v[14:15]
	v_fma_f64 v[12:13], -v[12:13], v[16:17], v[18:19]
	v_div_fmas_f64 v[12:13], v[12:13], v[14:15], v[16:17]
	v_div_fixup_f64 v[4:5], v[12:13], v[4:5], v[10:11]
	ds_write_b64 v7, v[4:5]
.LBB2_111:                              ;   in Loop: Header=BB2_108 Depth=2
	s_or_b64 exec, exec, s[2:3]
	v_cmp_lt_u32_e32 vcc, s45, v0
	v_cmp_ge_i32_e64 s[2:3], s46, v3
	s_and_b64 s[46:47], s[40:41], vcc
	s_and_b64 s[46:47], s[46:47], s[2:3]
	s_waitcnt lgkmcnt(0)
	s_barrier
	s_and_saveexec_b64 s[2:3], s[46:47]
	s_cbranch_execz .LBB2_107
; %bb.112:                              ;   in Loop: Header=BB2_108 Depth=2
	v_lshlrev_b64 v[4:5], 3, v[1:2]
	v_mov_b32_e32 v6, s43
	v_add_co_u32_e32 v4, vcc, s42, v4
	v_addc_co_u32_e32 v5, vcc, v6, v5, vcc
	global_load_dwordx2 v[4:5], v[4:5], off
	v_mov_b32_e32 v6, s44
	ds_read_b64 v[10:11], v6
	ds_read_b64 v[12:13], v7
	s_waitcnt vmcnt(0) lgkmcnt(0)
	v_fma_f64 v[4:5], -v[4:5], v[10:11], v[12:13]
	ds_write_b64 v7, v[4:5]
	s_branch .LBB2_107
.LBB2_113:                              ;   in Loop: Header=BB2_108 Depth=2
                                        ; implicit-def: $sgpr45
                                        ; implicit-def: $sgpr44
                                        ; implicit-def: $sgpr42_sgpr43
	s_cbranch_execz .LBB2_108
.LBB2_114:                              ;   in Loop: Header=BB2_104 Depth=1
	s_add_i32 s60, s59, 0x200
	s_cmp_ge_i32 s60, s25
	s_cselect_b64 s[2:3], -1, 0
	s_and_b64 vcc, exec, s[2:3]
	s_waitcnt lgkmcnt(0)
	s_barrier
	s_cbranch_vccnz .LBB2_134
; %bb.115:                              ;   in Loop: Header=BB2_104 Depth=1
	v_ashrrev_i32_e32 v1, 31, v8
	v_mov_b32_e32 v4, s37
	v_add_co_u32_e32 v3, vcc, s36, v8
	v_addc_co_u32_e32 v4, vcc, v4, v1, vcc
	v_lshlrev_b64 v[3:4], 3, v[3:4]
	s_mov_b64 s[40:41], 0
	s_mov_b64 s[42:43], s[34:35]
	;; [unrolled: 1-line block ×3, first 2 shown]
	v_mov_b32_e32 v1, v0
	s_mov_b32 s61, s60
                                        ; implicit-def: $sgpr46_sgpr47
	s_branch .LBB2_118
.LBB2_116:                              ;   in Loop: Header=BB2_118 Depth=2
	v_mad_u64_u32 v[11:12], s[50:51], s20, v10, 0
	s_addk_i32 s61, 0x200
	s_add_u32 s44, s44, 0x1000
	v_mad_u64_u32 v[12:13], s[50:51], s21, v10, v[12:13]
	v_mov_b32_e32 v13, s33
	s_addc_u32 s45, s45, 0
	v_lshlrev_b64 v[10:11], 3, v[11:12]
	s_add_u32 s42, s42, 0x1000
	v_add_co_u32_e32 v10, vcc, s24, v10
	v_addc_co_u32_e32 v11, vcc, v13, v11, vcc
	global_load_dwordx2 v[12:13], v[10:11], off
	s_addc_u32 s43, s43, 0
	s_cmp_ge_i32 s61, s25
	s_cselect_b64 s[50:51], -1, 0
	s_andn2_b64 s[46:47], s[46:47], exec
	s_and_b64 s[50:51], s[50:51], exec
	s_or_b64 s[46:47], s[46:47], s[50:51]
	s_waitcnt vmcnt(0)
	v_add_f64 v[5:6], v[12:13], -v[5:6]
	global_store_dwordx2 v[10:11], v[5:6], off
.LBB2_117:                              ;   in Loop: Header=BB2_118 Depth=2
	s_or_b64 exec, exec, s[48:49]
	s_and_b64 s[48:49], exec, s[46:47]
	s_or_b64 s[40:41], s[48:49], s[40:41]
	s_andn2_b64 exec, exec, s[40:41]
	s_cbranch_execz .LBB2_133
.LBB2_118:                              ;   Parent Loop BB2_104 Depth=1
                                        ; =>  This Loop Header: Depth=2
                                        ;       Child Loop BB2_121 Depth 3
	v_add_u32_e32 v10, s61, v0
	v_cmp_gt_i32_e32 vcc, s25, v10
	s_or_b64 s[46:47], s[46:47], exec
	s_and_saveexec_b64 s[48:49], vcc
	s_cbranch_execz .LBB2_117
; %bb.119:                              ;   in Loop: Header=BB2_118 Depth=2
	v_mov_b32_e32 v5, 0
	v_subrev_u32_e32 v11, s26, v10
	v_add_u32_e32 v12, 0x1ff, v1
	v_add_u32_e32 v1, 0x200, v1
	v_mov_b32_e32 v6, 0
	s_mov_b32 s62, 0
	s_mov_b64 s[50:51], s[42:43]
	s_mov_b64 s[52:53], s[44:45]
	s_mov_b32 s63, 0
	s_branch .LBB2_121
.LBB2_120:                              ;   in Loop: Header=BB2_121 Depth=3
	s_or_b64 exec, exec, s[54:55]
	s_add_i32 s63, s63, 2
	s_add_u32 s52, s52, s27
	s_addc_u32 s53, s53, s58
	s_add_i32 s62, s62, 16
	s_add_u32 s50, s50, s27
	s_addc_u32 s51, s51, s58
	s_cmpk_eq_i32 s63, 0x200
	s_cbranch_scc1 .LBB2_116
.LBB2_121:                              ;   Parent Loop BB2_104 Depth=1
                                        ;     Parent Loop BB2_118 Depth=2
                                        ; =>    This Inner Loop Header: Depth=3
	v_cmp_ne_u32_e32 vcc, s63, v1
	s_add_i32 s64, s59, s63
	s_or_b64 s[54:55], s[38:39], vcc
	s_and_saveexec_b64 s[56:57], s[54:55]
	s_xor_b64 s[54:55], exec, s[56:57]
	s_cbranch_execz .LBB2_125
; %bb.122:                              ;   in Loop: Header=BB2_121 Depth=3
	s_cmp_lt_i32 s64, s25
	s_cselect_b64 s[56:57], -1, 0
	v_cmp_ge_i32_e32 vcc, s64, v11
	s_and_b64 s[66:67], s[56:57], vcc
	s_and_saveexec_b64 s[56:57], s[66:67]
	s_cbranch_execz .LBB2_124
; %bb.123:                              ;   in Loop: Header=BB2_121 Depth=3
	v_mov_b32_e32 v14, s51
	v_add_co_u32_e32 v13, vcc, s50, v3
	v_addc_co_u32_e32 v14, vcc, v14, v4, vcc
	global_load_dwordx2 v[13:14], v[13:14], off
	v_mov_b32_e32 v15, s62
	ds_read_b64 v[15:16], v15
	s_waitcnt vmcnt(0) lgkmcnt(0)
	v_fma_f64 v[5:6], v[13:14], v[15:16], v[5:6]
.LBB2_124:                              ;   in Loop: Header=BB2_121 Depth=3
	s_or_b64 exec, exec, s[56:57]
.LBB2_125:                              ;   in Loop: Header=BB2_121 Depth=3
	s_andn2_saveexec_b64 s[54:55], s[54:55]
	s_cbranch_execz .LBB2_127
; %bb.126:                              ;   in Loop: Header=BB2_121 Depth=3
	v_mov_b32_e32 v13, s62
	ds_read_b64 v[13:14], v13
	s_waitcnt lgkmcnt(0)
	v_add_f64 v[5:6], v[5:6], v[13:14]
.LBB2_127:                              ;   in Loop: Header=BB2_121 Depth=3
	s_or_b64 exec, exec, s[54:55]
	v_cmp_ne_u32_e32 vcc, s63, v12
	s_or_b64 s[54:55], s[38:39], vcc
	s_and_saveexec_b64 s[56:57], s[54:55]
	s_xor_b64 s[54:55], exec, s[56:57]
	s_cbranch_execz .LBB2_131
; %bb.128:                              ;   in Loop: Header=BB2_121 Depth=3
	s_add_i32 s64, s64, 1
	s_cmp_lt_i32 s64, s25
	s_cselect_b64 s[56:57], -1, 0
	v_cmp_ge_i32_e32 vcc, s64, v11
	s_and_b64 s[64:65], s[56:57], vcc
	s_and_saveexec_b64 s[56:57], s[64:65]
	s_cbranch_execz .LBB2_130
; %bb.129:                              ;   in Loop: Header=BB2_121 Depth=3
	v_mov_b32_e32 v14, s53
	v_add_co_u32_e32 v13, vcc, s52, v3
	v_addc_co_u32_e32 v14, vcc, v14, v4, vcc
	global_load_dwordx2 v[13:14], v[13:14], off
	v_mov_b32_e32 v15, s62
	ds_read_b64 v[15:16], v15 offset:8
	s_waitcnt vmcnt(0) lgkmcnt(0)
	v_fma_f64 v[5:6], v[13:14], v[15:16], v[5:6]
.LBB2_130:                              ;   in Loop: Header=BB2_121 Depth=3
	s_or_b64 exec, exec, s[56:57]
.LBB2_131:                              ;   in Loop: Header=BB2_121 Depth=3
	s_andn2_saveexec_b64 s[54:55], s[54:55]
	s_cbranch_execz .LBB2_120
; %bb.132:                              ;   in Loop: Header=BB2_121 Depth=3
	v_mov_b32_e32 v13, s62
	ds_read_b64 v[13:14], v13 offset:8
	s_waitcnt lgkmcnt(0)
	v_add_f64 v[5:6], v[5:6], v[13:14]
	s_branch .LBB2_120
.LBB2_133:                              ;   in Loop: Header=BB2_104 Depth=1
	s_or_b64 exec, exec, s[40:41]
.LBB2_134:                              ;   in Loop: Header=BB2_104 Depth=1
	s_and_saveexec_b64 s[40:41], s[0:1]
	s_cbranch_execz .LBB2_103
; %bb.135:                              ;   in Loop: Header=BB2_104 Depth=1
	v_mad_u64_u32 v[3:4], s[0:1], s20, v9, 0
	v_mov_b32_e32 v1, v4
	v_mad_u64_u32 v[4:5], s[0:1], s21, v9, v[1:2]
	ds_read_b64 v[5:6], v7
	v_mov_b32_e32 v1, s33
	v_lshlrev_b64 v[3:4], 3, v[3:4]
	v_add_co_u32_e32 v3, vcc, s24, v3
	v_addc_co_u32_e32 v4, vcc, v1, v4, vcc
	s_waitcnt lgkmcnt(0)
	global_store_dwordx2 v[3:4], v[5:6], off
	s_branch .LBB2_103
.LBB2_136:
	s_mov_b64 s[0:1], 0
.LBB2_137:
	s_andn2_b64 vcc, exec, s[0:1]
	s_cbranch_vccnz .LBB2_173
; %bb.138:
	s_andn2_b64 vcc, exec, s[6:7]
	s_cbranch_vccnz .LBB2_173
; %bb.139:
	s_add_i32 s22, s25, 0xfffffe00
	s_add_i32 s6, s25, -1
	s_add_u32 s2, s28, s30
	s_addc_u32 s3, s29, s31
	s_ashr_i32 s27, s26, 31
	s_lshl_b64 s[0:1], s[26:27], 3
	s_add_u32 s2, s2, s0
	s_addc_u32 s3, s3, s1
	s_ashr_i32 s7, s6, 31
	s_lshl_b64 s[0:1], s[6:7], 3
	s_sub_u32 s0, s2, s0
	s_subb_u32 s1, s3, s1
	s_add_u32 s16, s8, s0
	s_addc_u32 s17, s9, s1
	s_lshl_b64 s[18:19], s[12:13], 3
	s_add_u32 s7, s18, 8
	s_addc_u32 s38, s19, 0
	s_add_u32 s0, s10, s14
	s_addc_u32 s1, s11, s15
	;; [unrolled: 2-line block ×3, first 2 shown]
	s_ashr_i32 s3, s25, 31
	s_mov_b32 s2, s25
	s_lshl_b64 s[0:1], s[0:1], 3
	s_lshl_b64 s[2:3], s[2:3], 3
	s_sub_u32 s0, s0, s2
	s_subb_u32 s1, s1, s3
	s_add_u32 s0, s8, s0
	s_addc_u32 s1, s9, s1
	s_add_u32 s8, s0, 0xff8
	s_addc_u32 s9, s1, 0
	s_add_i32 s27, s25, 0xfffffe01
	s_add_u32 s39, s0, 0x1000
	s_addc_u32 s40, s1, 0
	s_lshl_b64 s[0:1], s[12:13], 4
	v_mov_b32_e32 v1, 0x2000
	v_add_u32_e32 v2, s25, v0
	s_add_u32 s41, s0, -16
	v_lshl_or_b32 v8, v0, 3, v1
	v_add_u32_e32 v1, 0xfffffe00, v2
	v_add_u32_e32 v9, 0xfffffc00, v2
	s_addc_u32 s42, s1, -1
	v_mov_b32_e32 v3, 0
	s_xor_b64 s[4:5], s[4:5], -1
	s_branch .LBB2_141
.LBB2_140:                              ;   in Loop: Header=BB2_141 Depth=1
	s_or_b64 exec, exec, s[10:11]
	s_addk_i32 s6, 0xfe00
	s_add_u32 s16, s16, 0x1000
	s_addc_u32 s17, s17, 0
	s_addk_i32 s25, 0xfe00
	s_add_u32 s8, s8, 0x1000
	s_addc_u32 s9, s9, 0
	s_addk_i32 s27, 0xfe00
	s_add_u32 s39, s39, 0x1000
	v_add_u32_e32 v1, 0xfffffe00, v1
	v_add_u32_e32 v9, 0xfffffe00, v9
	s_addc_u32 s40, s40, 0
	s_and_b64 vcc, exec, s[2:3]
	s_mov_b32 s22, s43
	s_waitcnt vmcnt(0)
	s_barrier
	s_cbranch_vccnz .LBB2_173
.LBB2_141:                              ; =>This Loop Header: Depth=1
                                        ;     Child Loop BB2_146 Depth 2
                                        ;     Child Loop BB2_155 Depth 2
                                        ;       Child Loop BB2_158 Depth 3
	v_add_u32_e32 v10, s22, v0
	v_cmp_gt_i32_e32 vcc, 0, v10
	v_cmp_lt_i32_e64 s[0:1], -1, v10
	s_and_saveexec_b64 s[10:11], s[0:1]
	s_cbranch_execz .LBB2_143
; %bb.142:                              ;   in Loop: Header=BB2_141 Depth=1
	v_mad_u64_u32 v[4:5], s[2:3], s20, v10, 0
	v_mov_b32_e32 v2, v5
	v_mad_u64_u32 v[5:6], s[2:3], s21, v10, v[2:3]
	v_mov_b32_e32 v2, s33
	v_lshlrev_b64 v[4:5], 3, v[4:5]
	v_add_co_u32_e64 v4, s[2:3], s24, v4
	v_addc_co_u32_e64 v5, s[2:3], v2, v5, s[2:3]
	global_load_dwordx2 v[4:5], v[4:5], off
	s_waitcnt vmcnt(0)
	ds_write_b64 v8, v[4:5]
.LBB2_143:                              ;   in Loop: Header=BB2_141 Depth=1
	s_or_b64 exec, exec, s[10:11]
	v_mov_b32_e32 v2, v3
	v_lshlrev_b64 v[4:5], 3, v[1:2]
	v_mov_b32_e32 v2, s17
	v_add_co_u32_e64 v4, s[2:3], s16, v4
	v_mov_b32_e32 v6, s16
	v_addc_co_u32_e64 v5, s[2:3], v2, v5, s[2:3]
	v_add_u32_e32 v2, s26, v10
	s_movk_i32 s12, 0x1ff
	s_movk_i32 s13, 0x2ff8
	v_mov_b32_e32 v7, s17
	s_xor_b64 s[10:11], vcc, -1
	s_mov_b32 s14, s6
	s_waitcnt lgkmcnt(0)
	s_barrier
	s_branch .LBB2_146
.LBB2_144:                              ;   in Loop: Header=BB2_146 Depth=2
	s_or_b64 exec, exec, s[2:3]
	v_add_co_u32_e32 v4, vcc, 8, v4
	s_add_i32 s12, s12, -1
	s_add_i32 s13, s13, -8
	v_addc_co_u32_e32 v5, vcc, 0, v5, vcc
	s_add_i32 s14, s14, -1
	v_add_co_u32_e32 v6, vcc, 8, v6
	s_cmp_eq_u32 s12, -1
	v_addc_co_u32_e32 v7, vcc, 0, v7, vcc
	s_cselect_b64 s[2:3], -1, 0
.LBB2_145:                              ;   in Loop: Header=BB2_146 Depth=2
	s_and_b64 vcc, exec, s[2:3]
	s_cbranch_vccnz .LBB2_151
.LBB2_146:                              ;   Parent Loop BB2_141 Depth=1
                                        ; =>  This Inner Loop Header: Depth=2
	s_add_i32 s15, s6, s12
	s_addk_i32 s15, 0xfe01
	s_cmp_lt_i32 s15, 0
	s_mov_b64 s[2:3], -1
	s_cbranch_scc1 .LBB2_145
; %bb.147:                              ;   in Loop: Header=BB2_146 Depth=2
	v_cmp_eq_u32_e32 vcc, s12, v0
	s_and_b64 s[28:29], s[4:5], vcc
	s_and_saveexec_b64 s[2:3], s[28:29]
	s_cbranch_execz .LBB2_149
; %bb.148:                              ;   in Loop: Header=BB2_146 Depth=2
	s_mul_i32 s23, s38, s14
	s_mul_hi_u32 s28, s7, s14
	s_add_i32 s23, s28, s23
	s_mul_i32 s28, s7, s14
	v_mov_b32_e32 v12, s23
	v_add_co_u32_e32 v11, vcc, s28, v6
	v_addc_co_u32_e32 v12, vcc, v7, v12, vcc
	global_load_dwordx2 v[11:12], v[11:12], off
	ds_read_b64 v[13:14], v8
	s_waitcnt vmcnt(0) lgkmcnt(0)
	v_div_scale_f64 v[15:16], s[28:29], v[11:12], v[11:12], v[13:14]
	v_div_scale_f64 v[21:22], vcc, v[13:14], v[11:12], v[13:14]
	v_rcp_f64_e32 v[17:18], v[15:16]
	v_fma_f64 v[19:20], -v[15:16], v[17:18], 1.0
	v_fma_f64 v[17:18], v[17:18], v[19:20], v[17:18]
	v_fma_f64 v[19:20], -v[15:16], v[17:18], 1.0
	v_fma_f64 v[17:18], v[17:18], v[19:20], v[17:18]
	v_mul_f64 v[19:20], v[21:22], v[17:18]
	v_fma_f64 v[15:16], -v[15:16], v[19:20], v[21:22]
	v_div_fmas_f64 v[15:16], v[15:16], v[17:18], v[19:20]
	v_div_fixup_f64 v[11:12], v[15:16], v[11:12], v[13:14]
	ds_write_b64 v8, v[11:12]
.LBB2_149:                              ;   in Loop: Header=BB2_146 Depth=2
	s_or_b64 exec, exec, s[2:3]
	v_cmp_gt_u32_e32 vcc, s12, v0
	v_cmp_le_i32_e64 s[2:3], s15, v2
	s_and_b64 s[28:29], s[10:11], vcc
	s_and_b64 s[28:29], s[28:29], s[2:3]
	s_waitcnt lgkmcnt(0)
	s_barrier
	s_and_saveexec_b64 s[2:3], s[28:29]
	s_cbranch_execz .LBB2_144
; %bb.150:                              ;   in Loop: Header=BB2_146 Depth=2
	v_mov_b32_e32 v11, s14
	v_mad_u64_u32 v[11:12], s[28:29], s18, v11, v[4:5]
	s_mul_i32 s15, s19, s14
	v_mov_b32_e32 v13, s13
	v_add_u32_e32 v12, s15, v12
	global_load_dwordx2 v[11:12], v[11:12], off
	ds_read_b64 v[13:14], v13
	ds_read_b64 v[15:16], v8
	s_waitcnt vmcnt(0) lgkmcnt(0)
	v_fma_f64 v[11:12], -v[11:12], v[13:14], v[15:16]
	ds_write_b64 v8, v[11:12]
	s_branch .LBB2_144
.LBB2_151:                              ;   in Loop: Header=BB2_141 Depth=1
	s_add_i32 s43, s22, 0xfffffe00
	s_cmp_lt_i32 s22, 1
	s_cselect_b64 s[2:3], -1, 0
	s_and_b64 vcc, exec, s[2:3]
	s_waitcnt lgkmcnt(0)
	s_barrier
	s_cbranch_vccnz .LBB2_171
; %bb.152:                              ;   in Loop: Header=BB2_141 Depth=1
	s_mul_i32 s10, s19, s22
	s_mul_hi_u32 s11, s18, s22
	s_add_i32 s11, s11, s10
	s_mul_i32 s10, s18, s22
	s_add_u32 s10, s39, s10
	s_addc_u32 s11, s40, s11
	s_mov_b64 s[12:13], 0
	v_mov_b32_e32 v2, v9
	v_mov_b32_e32 v11, v0
	s_mov_b32 s44, s43
                                        ; implicit-def: $sgpr14_sgpr15
	s_branch .LBB2_155
.LBB2_153:                              ;   in Loop: Header=BB2_155 Depth=2
	v_mad_u64_u32 v[6:7], s[28:29], s20, v12, 0
	s_add_i32 s30, s44, 0xfffffe00
	s_cmp_lt_i32 s44, 1
	v_mad_u64_u32 v[12:13], s[28:29], s21, v12, v[7:8]
	v_mov_b32_e32 v13, s33
	s_cselect_b64 s[28:29], -1, 0
	v_mov_b32_e32 v7, v12
	v_lshlrev_b64 v[6:7], 3, v[6:7]
	s_andn2_b64 s[14:15], s[14:15], exec
	v_add_co_u32_e32 v6, vcc, s24, v6
	v_addc_co_u32_e32 v7, vcc, v13, v7, vcc
	global_load_dwordx2 v[12:13], v[6:7], off
	s_and_b64 s[28:29], s[28:29], exec
	v_add_u32_e32 v2, 0xfffffe00, v2
	s_or_b64 s[14:15], s[14:15], s[28:29]
	s_mov_b32 s44, s30
	s_waitcnt vmcnt(0)
	v_add_f64 v[4:5], v[12:13], -v[4:5]
	global_store_dwordx2 v[6:7], v[4:5], off
.LBB2_154:                              ;   in Loop: Header=BB2_155 Depth=2
	s_or_b64 exec, exec, s[22:23]
	s_and_b64 s[22:23], exec, s[14:15]
	s_or_b64 s[12:13], s[22:23], s[12:13]
	s_andn2_b64 exec, exec, s[12:13]
	s_cbranch_execz .LBB2_170
.LBB2_155:                              ;   Parent Loop BB2_141 Depth=1
                                        ; =>  This Loop Header: Depth=2
                                        ;       Child Loop BB2_158 Depth 3
	v_add_u32_e32 v12, s44, v0
	v_cmp_lt_i32_e32 vcc, -1, v12
	s_or_b64 s[14:15], s[14:15], exec
	s_and_saveexec_b64 s[22:23], vcc
	s_cbranch_execz .LBB2_154
; %bb.156:                              ;   in Loop: Header=BB2_155 Depth=2
	v_lshlrev_b64 v[6:7], 3, v[2:3]
	v_mov_b32_e32 v4, 0
	v_add_u32_e32 v13, s26, v12
	v_add_u32_e32 v14, 0xfffffdff, v11
	;; [unrolled: 1-line block ×3, first 2 shown]
	v_mov_b32_e32 v5, 0
	s_mov_b32 s45, 0
	s_movk_i32 s46, 0x2000
	s_mov_b64 s[28:29], s[10:11]
	s_mov_b32 s47, s27
	s_mov_b64 s[30:31], s[8:9]
	s_branch .LBB2_158
.LBB2_157:                              ;   in Loop: Header=BB2_158 Depth=3
	s_or_b64 exec, exec, s[34:35]
	s_add_i32 s45, s45, 2
	s_add_i32 s46, s46, 16
	s_add_u32 s30, s30, -16
	s_addc_u32 s31, s31, -1
	s_add_i32 s47, s47, 2
	s_add_u32 s28, s28, s41
	s_addc_u32 s29, s29, s42
	s_cmpk_eq_i32 s45, 0x200
	s_cbranch_scc1 .LBB2_153
.LBB2_158:                              ;   Parent Loop BB2_141 Depth=1
                                        ;     Parent Loop BB2_155 Depth=2
                                        ; =>    This Inner Loop Header: Depth=3
	v_cmp_ne_u32_e32 vcc, s45, v11
	s_add_i32 s48, s25, s45
	s_or_b64 s[34:35], s[4:5], vcc
	s_and_saveexec_b64 s[36:37], s[34:35]
	s_xor_b64 s[34:35], exec, s[36:37]
	s_cbranch_execz .LBB2_162
; %bb.159:                              ;   in Loop: Header=BB2_158 Depth=3
	s_add_i32 s36, s48, 0xfffffe00
	v_cmp_le_i32_e32 vcc, s36, v13
	s_and_saveexec_b64 s[36:37], vcc
	s_cbranch_execz .LBB2_161
; %bb.160:                              ;   in Loop: Header=BB2_158 Depth=3
	v_mov_b32_e32 v16, s29
	v_add_co_u32_e32 v15, vcc, s28, v6
	v_addc_co_u32_e32 v16, vcc, v16, v7, vcc
	global_load_dwordx2 v[15:16], v[15:16], off
	v_mov_b32_e32 v17, s46
	ds_read_b64 v[17:18], v17
	s_waitcnt vmcnt(0) lgkmcnt(0)
	v_fma_f64 v[4:5], v[15:16], v[17:18], v[4:5]
.LBB2_161:                              ;   in Loop: Header=BB2_158 Depth=3
	s_or_b64 exec, exec, s[36:37]
.LBB2_162:                              ;   in Loop: Header=BB2_158 Depth=3
	s_andn2_saveexec_b64 s[34:35], s[34:35]
	s_cbranch_execz .LBB2_164
; %bb.163:                              ;   in Loop: Header=BB2_158 Depth=3
	v_mov_b32_e32 v15, s46
	ds_read_b64 v[15:16], v15
	s_waitcnt lgkmcnt(0)
	v_add_f64 v[4:5], v[4:5], v[15:16]
.LBB2_164:                              ;   in Loop: Header=BB2_158 Depth=3
	s_or_b64 exec, exec, s[34:35]
	v_cmp_ne_u32_e32 vcc, s45, v14
	s_or_b64 s[34:35], s[4:5], vcc
	s_and_saveexec_b64 s[36:37], s[34:35]
	s_xor_b64 s[34:35], exec, s[36:37]
	s_cbranch_execz .LBB2_168
; %bb.165:                              ;   in Loop: Header=BB2_158 Depth=3
	s_addk_i32 s48, 0xfe01
	v_cmp_le_i32_e32 vcc, s48, v13
	s_and_saveexec_b64 s[36:37], vcc
	s_cbranch_execz .LBB2_167
; %bb.166:                              ;   in Loop: Header=BB2_158 Depth=3
	s_mul_i32 s48, s19, s47
	s_mul_hi_u32 s49, s18, s47
	s_add_i32 s49, s49, s48
	s_mul_i32 s48, s18, s47
	s_add_u32 s48, s30, s48
	s_addc_u32 s49, s31, s49
	v_mov_b32_e32 v16, s49
	v_add_co_u32_e32 v15, vcc, s48, v6
	v_addc_co_u32_e32 v16, vcc, v16, v7, vcc
	global_load_dwordx2 v[15:16], v[15:16], off
	v_mov_b32_e32 v17, s46
	ds_read_b64 v[17:18], v17 offset:8
	s_waitcnt vmcnt(0) lgkmcnt(0)
	v_fma_f64 v[4:5], v[15:16], v[17:18], v[4:5]
.LBB2_167:                              ;   in Loop: Header=BB2_158 Depth=3
	s_or_b64 exec, exec, s[36:37]
.LBB2_168:                              ;   in Loop: Header=BB2_158 Depth=3
	s_andn2_saveexec_b64 s[34:35], s[34:35]
	s_cbranch_execz .LBB2_157
; %bb.169:                              ;   in Loop: Header=BB2_158 Depth=3
	v_mov_b32_e32 v15, s46
	ds_read_b64 v[15:16], v15 offset:8
	s_waitcnt lgkmcnt(0)
	v_add_f64 v[4:5], v[4:5], v[15:16]
	s_branch .LBB2_157
.LBB2_170:                              ;   in Loop: Header=BB2_141 Depth=1
	s_or_b64 exec, exec, s[12:13]
.LBB2_171:                              ;   in Loop: Header=BB2_141 Depth=1
	s_and_saveexec_b64 s[10:11], s[0:1]
	s_cbranch_execz .LBB2_140
; %bb.172:                              ;   in Loop: Header=BB2_141 Depth=1
	v_mad_u64_u32 v[4:5], s[0:1], s20, v10, 0
	v_mov_b32_e32 v2, v5
	v_mad_u64_u32 v[5:6], s[0:1], s21, v10, v[2:3]
	ds_read_b64 v[6:7], v8
	v_mov_b32_e32 v2, s33
	v_lshlrev_b64 v[4:5], 3, v[4:5]
	v_add_co_u32_e32 v4, vcc, s24, v4
	v_addc_co_u32_e32 v5, vcc, v2, v5, vcc
	s_waitcnt lgkmcnt(0)
	global_store_dwordx2 v[4:5], v[6:7], off
	s_branch .LBB2_140
.LBB2_173:
	s_endpgm
	.section	.rodata,"a",@progbits
	.p2align	6, 0x0
	.amdhsa_kernel _ZL19rocblas_tbsv_kernelILb1ELi512EPKdPdEv18rocblas_operation_bbiiT1_lllT2_lll
		.amdhsa_group_segment_fixed_size 16384
		.amdhsa_private_segment_fixed_size 0
		.amdhsa_kernarg_size 80
		.amdhsa_user_sgpr_count 6
		.amdhsa_user_sgpr_private_segment_buffer 1
		.amdhsa_user_sgpr_dispatch_ptr 0
		.amdhsa_user_sgpr_queue_ptr 0
		.amdhsa_user_sgpr_kernarg_segment_ptr 1
		.amdhsa_user_sgpr_dispatch_id 0
		.amdhsa_user_sgpr_flat_scratch_init 0
		.amdhsa_user_sgpr_private_segment_size 0
		.amdhsa_uses_dynamic_stack 0
		.amdhsa_system_sgpr_private_segment_wavefront_offset 0
		.amdhsa_system_sgpr_workgroup_id_x 1
		.amdhsa_system_sgpr_workgroup_id_y 0
		.amdhsa_system_sgpr_workgroup_id_z 0
		.amdhsa_system_sgpr_workgroup_info 0
		.amdhsa_system_vgpr_workitem_id 0
		.amdhsa_next_free_vgpr 29
		.amdhsa_next_free_sgpr 68
		.amdhsa_reserve_vcc 1
		.amdhsa_reserve_flat_scratch 0
		.amdhsa_float_round_mode_32 0
		.amdhsa_float_round_mode_16_64 0
		.amdhsa_float_denorm_mode_32 3
		.amdhsa_float_denorm_mode_16_64 3
		.amdhsa_dx10_clamp 1
		.amdhsa_ieee_mode 1
		.amdhsa_fp16_overflow 0
		.amdhsa_exception_fp_ieee_invalid_op 0
		.amdhsa_exception_fp_denorm_src 0
		.amdhsa_exception_fp_ieee_div_zero 0
		.amdhsa_exception_fp_ieee_overflow 0
		.amdhsa_exception_fp_ieee_underflow 0
		.amdhsa_exception_fp_ieee_inexact 0
		.amdhsa_exception_int_div_zero 0
	.end_amdhsa_kernel
	.section	.text._ZL19rocblas_tbsv_kernelILb1ELi512EPKdPdEv18rocblas_operation_bbiiT1_lllT2_lll,"axG",@progbits,_ZL19rocblas_tbsv_kernelILb1ELi512EPKdPdEv18rocblas_operation_bbiiT1_lllT2_lll,comdat
.Lfunc_end2:
	.size	_ZL19rocblas_tbsv_kernelILb1ELi512EPKdPdEv18rocblas_operation_bbiiT1_lllT2_lll, .Lfunc_end2-_ZL19rocblas_tbsv_kernelILb1ELi512EPKdPdEv18rocblas_operation_bbiiT1_lllT2_lll
                                        ; -- End function
	.set _ZL19rocblas_tbsv_kernelILb1ELi512EPKdPdEv18rocblas_operation_bbiiT1_lllT2_lll.num_vgpr, 26
	.set _ZL19rocblas_tbsv_kernelILb1ELi512EPKdPdEv18rocblas_operation_bbiiT1_lllT2_lll.num_agpr, 0
	.set _ZL19rocblas_tbsv_kernelILb1ELi512EPKdPdEv18rocblas_operation_bbiiT1_lllT2_lll.numbered_sgpr, 68
	.set _ZL19rocblas_tbsv_kernelILb1ELi512EPKdPdEv18rocblas_operation_bbiiT1_lllT2_lll.num_named_barrier, 0
	.set _ZL19rocblas_tbsv_kernelILb1ELi512EPKdPdEv18rocblas_operation_bbiiT1_lllT2_lll.private_seg_size, 0
	.set _ZL19rocblas_tbsv_kernelILb1ELi512EPKdPdEv18rocblas_operation_bbiiT1_lllT2_lll.uses_vcc, 1
	.set _ZL19rocblas_tbsv_kernelILb1ELi512EPKdPdEv18rocblas_operation_bbiiT1_lllT2_lll.uses_flat_scratch, 0
	.set _ZL19rocblas_tbsv_kernelILb1ELi512EPKdPdEv18rocblas_operation_bbiiT1_lllT2_lll.has_dyn_sized_stack, 0
	.set _ZL19rocblas_tbsv_kernelILb1ELi512EPKdPdEv18rocblas_operation_bbiiT1_lllT2_lll.has_recursion, 0
	.set _ZL19rocblas_tbsv_kernelILb1ELi512EPKdPdEv18rocblas_operation_bbiiT1_lllT2_lll.has_indirect_call, 0
	.section	.AMDGPU.csdata,"",@progbits
; Kernel info:
; codeLenInByte = 5984
; TotalNumSgprs: 72
; NumVgprs: 26
; ScratchSize: 0
; MemoryBound: 0
; FloatMode: 240
; IeeeMode: 1
; LDSByteSize: 16384 bytes/workgroup (compile time only)
; SGPRBlocks: 8
; VGPRBlocks: 7
; NumSGPRsForWavesPerEU: 72
; NumVGPRsForWavesPerEU: 29
; Occupancy: 8
; WaveLimiterHint : 0
; COMPUTE_PGM_RSRC2:SCRATCH_EN: 0
; COMPUTE_PGM_RSRC2:USER_SGPR: 6
; COMPUTE_PGM_RSRC2:TRAP_HANDLER: 0
; COMPUTE_PGM_RSRC2:TGID_X_EN: 1
; COMPUTE_PGM_RSRC2:TGID_Y_EN: 0
; COMPUTE_PGM_RSRC2:TGID_Z_EN: 0
; COMPUTE_PGM_RSRC2:TIDIG_COMP_CNT: 0
	.section	.text._ZL19rocblas_tbsv_kernelILb0ELi512EPKdPdEv18rocblas_operation_bbiiT1_lllT2_lll,"axG",@progbits,_ZL19rocblas_tbsv_kernelILb0ELi512EPKdPdEv18rocblas_operation_bbiiT1_lllT2_lll,comdat
	.globl	_ZL19rocblas_tbsv_kernelILb0ELi512EPKdPdEv18rocblas_operation_bbiiT1_lllT2_lll ; -- Begin function _ZL19rocblas_tbsv_kernelILb0ELi512EPKdPdEv18rocblas_operation_bbiiT1_lllT2_lll
	.p2align	8
	.type	_ZL19rocblas_tbsv_kernelILb0ELi512EPKdPdEv18rocblas_operation_bbiiT1_lllT2_lll,@function
_ZL19rocblas_tbsv_kernelILb0ELi512EPKdPdEv18rocblas_operation_bbiiT1_lllT2_lll: ; @_ZL19rocblas_tbsv_kernelILb0ELi512EPKdPdEv18rocblas_operation_bbiiT1_lllT2_lll
; %bb.0:
	s_load_dwordx2 s[0:1], s[4:5], 0x0
	s_load_dwordx4 s[24:27], s[4:5], 0x4
	s_load_dwordx16 s[8:23], s[4:5], 0x10
	s_waitcnt lgkmcnt(0)
	s_bitcmp1_b32 s1, 0
	s_cselect_b64 s[2:3], -1, 0
	s_xor_b64 s[36:37], s[2:3], -1
	s_bitcmp1_b32 s24, 8
	s_mul_i32 s1, s15, s6
	s_mul_hi_u32 s2, s14, s6
	s_cselect_b64 s[4:5], -1, 0
	s_add_i32 s15, s2, s1
	s_mul_i32 s14, s14, s6
	s_lshl_b64 s[28:29], s[14:15], 3
	s_add_u32 s1, s8, s28
	s_addc_u32 s2, s9, s29
	s_lshl_b64 s[30:31], s[10:11], 3
	s_add_u32 s34, s1, s30
	s_addc_u32 s35, s2, s31
	s_mul_i32 s1, s23, s6
	s_mul_hi_u32 s2, s22, s6
	s_add_i32 s3, s2, s1
	s_mul_i32 s2, s22, s6
	s_lshl_b64 s[2:3], s[2:3], 3
	s_add_u32 s1, s16, s2
	s_addc_u32 s6, s17, s3
	s_lshl_b64 s[2:3], s[18:19], 3
	s_add_u32 s24, s1, s2
	s_addc_u32 s33, s6, s3
	s_cmp_gt_i32 s25, 0
	s_cselect_b64 s[6:7], -1, 0
	s_cmpk_lg_i32 s0, 0x6f
	s_mov_b64 s[0:1], -1
	s_cbranch_scc0 .LBB3_99
; %bb.1:
	s_and_b64 vcc, exec, s[36:37]
	s_cbranch_vccz .LBB3_50
; %bb.2:
	s_andn2_b64 vcc, exec, s[6:7]
	s_cbranch_vccnz .LBB3_49
; %bb.3:
	s_add_i32 s40, s25, 0xfffffe00
	s_add_i32 s27, s25, -1
	s_add_u32 s2, s28, s30
	s_addc_u32 s3, s29, s31
	s_ashr_i32 s1, s25, 31
	s_mov_b32 s0, s25
	s_lshl_b64 s[0:1], s[0:1], 3
	s_add_u32 s0, s2, s0
	s_addc_u32 s1, s3, s1
	s_add_u32 s0, s8, s0
	v_mov_b32_e32 v1, 0x3000
	s_addc_u32 s1, s9, s1
	v_lshl_or_b32 v9, v0, 3, v1
	s_add_u32 s16, s0, 0xfffff000
	v_add_u32_e32 v1, s25, v0
	v_sub_u32_e32 v10, 0, v0
	s_addc_u32 s17, s1, -1
	v_add_u32_e32 v11, 0xfffffc00, v1
	s_lshl_b64 s[18:19], s[12:13], 3
	v_mov_b32_e32 v12, s35
	s_xor_b64 s[22:23], s[4:5], -1
	v_mov_b32_e32 v2, 0
	s_mov_b32 s48, s25
	s_branch .LBB3_5
.LBB3_4:                                ;   in Loop: Header=BB3_5 Depth=1
	s_or_b64 exec, exec, s[38:39]
	s_addk_i32 s27, 0xfe00
	s_addk_i32 s48, 0xfe00
	s_add_u32 s16, s16, 0xfffff000
	s_addc_u32 s17, s17, -1
	v_add_u32_e32 v11, 0xfffffe00, v11
	s_andn2_b64 vcc, exec, s[2:3]
	s_mov_b32 s40, s49
	s_waitcnt vmcnt(0)
	s_barrier
	s_cbranch_vccz .LBB3_49
.LBB3_5:                                ; =>This Loop Header: Depth=1
                                        ;     Child Loop BB3_10 Depth 2
                                        ;     Child Loop BB3_19 Depth 2
                                        ;       Child Loop BB3_22 Depth 3
	v_add_u32_e32 v13, s40, v0
	v_cmp_gt_i32_e32 vcc, 0, v13
	v_cmp_lt_i32_e64 s[0:1], -1, v13
	s_and_saveexec_b64 s[38:39], s[0:1]
	s_cbranch_execz .LBB3_7
; %bb.6:                                ;   in Loop: Header=BB3_5 Depth=1
	v_mad_u64_u32 v[3:4], s[2:3], s20, v13, 0
	v_mov_b32_e32 v1, v4
	v_mad_u64_u32 v[4:5], s[2:3], s21, v13, v[1:2]
	v_mov_b32_e32 v1, s33
	v_lshlrev_b64 v[3:4], 3, v[3:4]
	v_add_co_u32_e64 v3, s[2:3], s24, v3
	v_addc_co_u32_e64 v4, s[2:3], v1, v4, s[2:3]
	global_load_dwordx2 v[3:4], v[3:4], off
	s_waitcnt vmcnt(0)
	ds_write_b64 v9, v[3:4]
.LBB3_7:                                ;   in Loop: Header=BB3_5 Depth=1
	s_or_b64 exec, exec, s[38:39]
	v_ashrrev_i32_e32 v1, 31, v13
	v_mul_lo_u32 v6, s13, v13
	v_mul_lo_u32 v1, s12, v1
	v_mad_u64_u32 v[4:5], s[2:3], s12, v13, 0
	v_add_u32_e32 v3, s26, v13
	s_movk_i32 s41, 0x1ff
	v_add3_u32 v5, v5, v1, v6
	v_lshlrev_b64 v[4:5], 3, v[4:5]
	s_movk_i32 s42, 0x3ff8
	v_add_co_u32_e64 v4, s[2:3], s34, v4
	v_addc_co_u32_e64 v5, s[2:3], v12, v5, s[2:3]
	s_xor_b64 s[38:39], vcc, -1
	s_waitcnt lgkmcnt(0)
	s_barrier
	s_branch .LBB3_10
.LBB3_8:                                ;   in Loop: Header=BB3_10 Depth=2
	s_or_b64 exec, exec, s[2:3]
	s_add_i32 s41, s41, -1
	s_add_i32 s42, s42, -8
	s_cmp_eq_u32 s41, -1
	s_cselect_b64 s[2:3], -1, 0
.LBB3_9:                                ;   in Loop: Header=BB3_10 Depth=2
	s_and_b64 vcc, exec, s[2:3]
	s_cbranch_vccnz .LBB3_15
.LBB3_10:                               ;   Parent Loop BB3_5 Depth=1
                                        ; =>  This Inner Loop Header: Depth=2
	s_add_i32 s43, s27, s41
	s_addk_i32 s43, 0xfe01
	s_cmp_lt_i32 s43, 0
	s_mov_b64 s[2:3], -1
	s_cbranch_scc1 .LBB3_9
; %bb.11:                               ;   in Loop: Header=BB3_10 Depth=2
	v_add_u32_e32 v1, s41, v10
	v_cmp_eq_u32_e32 vcc, 0, v1
	s_and_b64 s[44:45], s[22:23], vcc
	s_and_saveexec_b64 s[2:3], s[44:45]
	s_cbranch_execz .LBB3_13
; %bb.12:                               ;   in Loop: Header=BB3_10 Depth=2
	s_mul_i32 s44, s13, s43
	s_mul_hi_u32 s45, s12, s43
	s_add_i32 s45, s45, s44
	s_mul_i32 s44, s12, s43
	s_lshl_b64 s[44:45], s[44:45], 3
	s_add_u32 s44, s34, s44
	s_addc_u32 s45, s35, s45
	global_load_dwordx2 v[6:7], v2, s[44:45]
	ds_read_b64 v[14:15], v9
	s_waitcnt vmcnt(0) lgkmcnt(0)
	v_div_scale_f64 v[16:17], s[44:45], v[6:7], v[6:7], v[14:15]
	v_div_scale_f64 v[22:23], vcc, v[14:15], v[6:7], v[14:15]
	v_rcp_f64_e32 v[18:19], v[16:17]
	v_fma_f64 v[20:21], -v[16:17], v[18:19], 1.0
	v_fma_f64 v[18:19], v[18:19], v[20:21], v[18:19]
	v_fma_f64 v[20:21], -v[16:17], v[18:19], 1.0
	v_fma_f64 v[18:19], v[18:19], v[20:21], v[18:19]
	v_mul_f64 v[20:21], v[22:23], v[18:19]
	v_fma_f64 v[16:17], -v[16:17], v[20:21], v[22:23]
	v_div_fmas_f64 v[16:17], v[16:17], v[18:19], v[20:21]
	v_div_fixup_f64 v[6:7], v[16:17], v[6:7], v[14:15]
	ds_write_b64 v9, v[6:7]
.LBB3_13:                               ;   in Loop: Header=BB3_10 Depth=2
	s_or_b64 exec, exec, s[2:3]
	v_cmp_gt_u32_e32 vcc, s41, v0
	v_cmp_le_i32_e64 s[2:3], s43, v3
	s_and_b64 s[44:45], s[38:39], vcc
	s_and_b64 s[44:45], s[44:45], s[2:3]
	s_waitcnt lgkmcnt(0)
	s_barrier
	s_and_saveexec_b64 s[2:3], s[44:45]
	s_cbranch_execz .LBB3_8
; %bb.14:                               ;   in Loop: Header=BB3_10 Depth=2
	v_lshlrev_b64 v[6:7], 3, v[1:2]
	v_mov_b32_e32 v1, s42
	v_add_co_u32_e32 v6, vcc, v4, v6
	v_addc_co_u32_e32 v7, vcc, v5, v7, vcc
	global_load_dwordx2 v[6:7], v[6:7], off
	ds_read_b64 v[14:15], v1
	ds_read_b64 v[16:17], v9
	s_waitcnt vmcnt(0) lgkmcnt(0)
	v_fma_f64 v[6:7], -v[6:7], v[14:15], v[16:17]
	ds_write_b64 v9, v[6:7]
	s_branch .LBB3_8
.LBB3_15:                               ;   in Loop: Header=BB3_5 Depth=1
	s_add_i32 s49, s40, 0xfffffe00
	s_cmp_lt_i32 s40, 1
	s_cselect_b64 s[2:3], -1, 0
	s_and_b64 vcc, exec, s[2:3]
	s_waitcnt lgkmcnt(0)
	s_barrier
	s_cbranch_vccnz .LBB3_47
; %bb.16:                               ;   in Loop: Header=BB3_5 Depth=1
	v_mad_i64_i32 v[3:4], s[38:39], v11, -8, s[16:17]
	s_mov_b64 s[38:39], 0
	v_mov_b32_e32 v1, v11
	v_mov_b32_e32 v14, v0
	s_mov_b32 s50, s49
                                        ; implicit-def: $sgpr40_sgpr41
	s_branch .LBB3_19
.LBB3_17:                               ;   in Loop: Header=BB3_19 Depth=2
	v_mad_u64_u32 v[7:8], s[44:45], s20, v15, 0
	s_add_i32 s46, s50, 0xfffffe00
	s_cmp_lt_i32 s50, 1
	v_mad_u64_u32 v[15:16], s[44:45], s21, v15, v[8:9]
	v_mov_b32_e32 v16, s33
	s_cselect_b64 s[44:45], -1, 0
	v_mov_b32_e32 v8, v15
	v_lshlrev_b64 v[7:8], 3, v[7:8]
	s_andn2_b64 s[40:41], s[40:41], exec
	v_add_co_u32_e32 v7, vcc, s24, v7
	v_addc_co_u32_e32 v8, vcc, v16, v8, vcc
	global_load_dwordx2 v[15:16], v[7:8], off
	v_add_co_u32_e32 v3, vcc, 0x1000, v3
	s_and_b64 s[44:45], s[44:45], exec
	v_add_u32_e32 v1, 0xfffffe00, v1
	v_addc_co_u32_e32 v4, vcc, 0, v4, vcc
	s_or_b64 s[40:41], s[40:41], s[44:45]
	s_mov_b32 s50, s46
	s_waitcnt vmcnt(0)
	v_add_f64 v[5:6], v[15:16], -v[5:6]
	global_store_dwordx2 v[7:8], v[5:6], off
.LBB3_18:                               ;   in Loop: Header=BB3_19 Depth=2
	s_or_b64 exec, exec, s[42:43]
	s_and_b64 s[42:43], exec, s[40:41]
	s_or_b64 s[38:39], s[42:43], s[38:39]
	s_andn2_b64 exec, exec, s[38:39]
	s_cbranch_execz .LBB3_46
.LBB3_19:                               ;   Parent Loop BB3_5 Depth=1
                                        ; =>  This Loop Header: Depth=2
                                        ;       Child Loop BB3_22 Depth 3
	v_add_u32_e32 v15, s50, v0
	v_cmp_lt_i32_e32 vcc, -1, v15
	s_or_b64 s[40:41], s[40:41], exec
	s_and_saveexec_b64 s[42:43], vcc
	s_cbranch_execz .LBB3_18
; %bb.20:                               ;   in Loop: Header=BB3_19 Depth=2
	v_mad_u64_u32 v[7:8], s[44:45], s18, v1, v[3:4]
	v_add_u32_e32 v16, s26, v15
	v_add_u32_e32 v17, 0xfffffdfd, v14
	v_mov_b32_e32 v5, v8
	v_mad_u64_u32 v[5:6], s[44:45], s19, v1, v[5:6]
	v_add_u32_e32 v18, 0xfffffdfe, v14
	v_add_u32_e32 v19, 0xfffffdff, v14
	v_mov_b32_e32 v8, v5
	v_mov_b32_e32 v5, 0
	v_add_u32_e32 v14, 0xfffffe00, v14
	v_mov_b32_e32 v6, 0
	s_mov_b32 s51, 0
	s_movk_i32 s52, 0x3000
	s_branch .LBB3_22
.LBB3_21:                               ;   in Loop: Header=BB3_22 Depth=3
	s_or_b64 exec, exec, s[44:45]
	s_add_i32 s51, s51, 4
	s_add_i32 s52, s52, 32
	v_add_co_u32_e32 v7, vcc, 32, v7
	s_cmpk_eq_i32 s51, 0x200
	v_addc_co_u32_e32 v8, vcc, 0, v8, vcc
	s_cbranch_scc1 .LBB3_17
.LBB3_22:                               ;   Parent Loop BB3_5 Depth=1
                                        ;     Parent Loop BB3_19 Depth=2
                                        ; =>    This Inner Loop Header: Depth=3
	v_cmp_ne_u32_e32 vcc, s51, v14
	s_add_i32 s53, s48, s51
	s_or_b64 s[44:45], s[22:23], vcc
	s_and_saveexec_b64 s[46:47], s[44:45]
	s_xor_b64 s[44:45], exec, s[46:47]
	s_cbranch_execz .LBB3_26
; %bb.23:                               ;   in Loop: Header=BB3_22 Depth=3
	s_add_i32 s46, s53, 0xfffffe00
	v_cmp_le_i32_e32 vcc, s46, v16
	s_and_saveexec_b64 s[46:47], vcc
	s_cbranch_execz .LBB3_25
; %bb.24:                               ;   in Loop: Header=BB3_22 Depth=3
	global_load_dwordx2 v[20:21], v[7:8], off
	v_mov_b32_e32 v22, s52
	ds_read_b64 v[22:23], v22
	s_waitcnt vmcnt(0) lgkmcnt(0)
	v_fma_f64 v[5:6], v[20:21], v[22:23], v[5:6]
.LBB3_25:                               ;   in Loop: Header=BB3_22 Depth=3
	s_or_b64 exec, exec, s[46:47]
.LBB3_26:                               ;   in Loop: Header=BB3_22 Depth=3
	s_andn2_saveexec_b64 s[44:45], s[44:45]
	s_cbranch_execz .LBB3_28
; %bb.27:                               ;   in Loop: Header=BB3_22 Depth=3
	v_mov_b32_e32 v20, s52
	ds_read_b64 v[20:21], v20
	s_waitcnt lgkmcnt(0)
	v_add_f64 v[5:6], v[5:6], v[20:21]
.LBB3_28:                               ;   in Loop: Header=BB3_22 Depth=3
	s_or_b64 exec, exec, s[44:45]
	v_cmp_ne_u32_e32 vcc, s51, v19
	s_or_b64 s[44:45], s[22:23], vcc
	s_and_saveexec_b64 s[46:47], s[44:45]
	s_xor_b64 s[44:45], exec, s[46:47]
	s_cbranch_execz .LBB3_32
; %bb.29:                               ;   in Loop: Header=BB3_22 Depth=3
	s_add_i32 s46, s53, 0xfffffe01
	v_cmp_le_i32_e32 vcc, s46, v16
	s_and_saveexec_b64 s[46:47], vcc
	s_cbranch_execz .LBB3_31
; %bb.30:                               ;   in Loop: Header=BB3_22 Depth=3
	global_load_dwordx2 v[20:21], v[7:8], off offset:8
	v_mov_b32_e32 v22, s52
	ds_read_b64 v[22:23], v22 offset:8
	s_waitcnt vmcnt(0) lgkmcnt(0)
	v_fma_f64 v[5:6], v[20:21], v[22:23], v[5:6]
.LBB3_31:                               ;   in Loop: Header=BB3_22 Depth=3
	s_or_b64 exec, exec, s[46:47]
.LBB3_32:                               ;   in Loop: Header=BB3_22 Depth=3
	s_andn2_saveexec_b64 s[44:45], s[44:45]
	s_cbranch_execz .LBB3_34
; %bb.33:                               ;   in Loop: Header=BB3_22 Depth=3
	v_mov_b32_e32 v20, s52
	ds_read_b64 v[20:21], v20 offset:8
	s_waitcnt lgkmcnt(0)
	v_add_f64 v[5:6], v[5:6], v[20:21]
.LBB3_34:                               ;   in Loop: Header=BB3_22 Depth=3
	s_or_b64 exec, exec, s[44:45]
	v_cmp_ne_u32_e32 vcc, s51, v18
	s_or_b64 s[44:45], s[22:23], vcc
	s_and_saveexec_b64 s[46:47], s[44:45]
	s_xor_b64 s[44:45], exec, s[46:47]
	s_cbranch_execz .LBB3_38
; %bb.35:                               ;   in Loop: Header=BB3_22 Depth=3
	s_add_i32 s46, s53, 0xfffffe02
	v_cmp_le_i32_e32 vcc, s46, v16
	s_and_saveexec_b64 s[46:47], vcc
	s_cbranch_execz .LBB3_37
; %bb.36:                               ;   in Loop: Header=BB3_22 Depth=3
	global_load_dwordx2 v[20:21], v[7:8], off offset:16
	v_mov_b32_e32 v22, s52
	ds_read_b64 v[22:23], v22 offset:16
	s_waitcnt vmcnt(0) lgkmcnt(0)
	v_fma_f64 v[5:6], v[20:21], v[22:23], v[5:6]
.LBB3_37:                               ;   in Loop: Header=BB3_22 Depth=3
	s_or_b64 exec, exec, s[46:47]
.LBB3_38:                               ;   in Loop: Header=BB3_22 Depth=3
	s_andn2_saveexec_b64 s[44:45], s[44:45]
	s_cbranch_execz .LBB3_40
; %bb.39:                               ;   in Loop: Header=BB3_22 Depth=3
	v_mov_b32_e32 v20, s52
	ds_read_b64 v[20:21], v20 offset:16
	s_waitcnt lgkmcnt(0)
	v_add_f64 v[5:6], v[5:6], v[20:21]
.LBB3_40:                               ;   in Loop: Header=BB3_22 Depth=3
	s_or_b64 exec, exec, s[44:45]
	v_cmp_ne_u32_e32 vcc, s51, v17
	s_or_b64 s[44:45], s[22:23], vcc
	s_and_saveexec_b64 s[46:47], s[44:45]
	s_xor_b64 s[44:45], exec, s[46:47]
	s_cbranch_execz .LBB3_44
; %bb.41:                               ;   in Loop: Header=BB3_22 Depth=3
	s_addk_i32 s53, 0xfe03
	v_cmp_le_i32_e32 vcc, s53, v16
	s_and_saveexec_b64 s[46:47], vcc
	s_cbranch_execz .LBB3_43
; %bb.42:                               ;   in Loop: Header=BB3_22 Depth=3
	global_load_dwordx2 v[20:21], v[7:8], off offset:24
	v_mov_b32_e32 v22, s52
	ds_read_b64 v[22:23], v22 offset:24
	s_waitcnt vmcnt(0) lgkmcnt(0)
	v_fma_f64 v[5:6], v[20:21], v[22:23], v[5:6]
.LBB3_43:                               ;   in Loop: Header=BB3_22 Depth=3
	s_or_b64 exec, exec, s[46:47]
.LBB3_44:                               ;   in Loop: Header=BB3_22 Depth=3
	s_andn2_saveexec_b64 s[44:45], s[44:45]
	s_cbranch_execz .LBB3_21
; %bb.45:                               ;   in Loop: Header=BB3_22 Depth=3
	v_mov_b32_e32 v20, s52
	ds_read_b64 v[20:21], v20 offset:24
	s_waitcnt lgkmcnt(0)
	v_add_f64 v[5:6], v[5:6], v[20:21]
	s_branch .LBB3_21
.LBB3_46:                               ;   in Loop: Header=BB3_5 Depth=1
	s_or_b64 exec, exec, s[38:39]
.LBB3_47:                               ;   in Loop: Header=BB3_5 Depth=1
	s_and_saveexec_b64 s[38:39], s[0:1]
	s_cbranch_execz .LBB3_4
; %bb.48:                               ;   in Loop: Header=BB3_5 Depth=1
	v_mad_u64_u32 v[3:4], s[0:1], s20, v13, 0
	v_mov_b32_e32 v1, v4
	v_mad_u64_u32 v[4:5], s[0:1], s21, v13, v[1:2]
	ds_read_b64 v[5:6], v9
	v_mov_b32_e32 v1, s33
	v_lshlrev_b64 v[3:4], 3, v[3:4]
	v_add_co_u32_e32 v3, vcc, s24, v3
	v_addc_co_u32_e32 v4, vcc, v1, v4, vcc
	s_waitcnt lgkmcnt(0)
	global_store_dwordx2 v[3:4], v[5:6], off
	s_branch .LBB3_4
.LBB3_49:
	s_mov_b64 s[0:1], 0
.LBB3_50:
	s_andn2_b64 vcc, exec, s[0:1]
	s_cbranch_vccnz .LBB3_98
; %bb.51:
	s_andn2_b64 vcc, exec, s[6:7]
	s_cbranch_vccnz .LBB3_98
; %bb.52:
	s_lshl_b64 s[16:17], s[12:13], 3
	s_add_u32 s18, s16, -8
	s_addc_u32 s22, s17, -1
	s_ashr_i32 s27, s26, 31
	s_lshl_b64 s[0:1], s[26:27], 3
	s_add_u32 s2, s8, s0
	s_addc_u32 s3, s9, s1
	s_add_u32 s2, s2, s30
	s_addc_u32 s3, s3, s31
	s_add_u32 s2, s2, s28
	s_addc_u32 s3, s3, s29
	v_mov_b32_e32 v1, s2
	v_mov_b32_e32 v2, s3
	v_mad_u64_u32 v[1:2], s[18:19], s18, v0, v[1:2]
	v_or_b32_e32 v12, 0x200, v0
	s_mov_b32 s53, 0
	v_mad_u64_u32 v[2:3], s[18:19], s22, v0, v[2:3]
	v_mov_b32_e32 v3, 0x1000
	v_lshl_or_b32 v11, v0, 3, v3
	v_mad_u64_u32 v[3:4], s[22:23], s12, v12, 0
	s_lshl_b64 s[18:19], s[12:13], 12
	s_add_u32 s22, s28, s30
	s_addc_u32 s27, s29, s31
	s_add_u32 s0, s22, s0
	v_mad_u64_u32 v[4:5], s[22:23], s13, v12, v[4:5]
	s_addc_u32 s1, s27, s1
	s_add_u32 s22, s8, s0
	s_addc_u32 s23, s9, s1
	v_lshlrev_b64 v[3:4], 3, v[3:4]
	s_add_u32 s27, s18, 0x1000
	s_addc_u32 s50, s19, 0
	v_mov_b32_e32 v5, s3
	v_add_co_u32_e32 v3, vcc, s2, v3
	s_add_u32 s51, s18, 0xfffff000
	v_addc_co_u32_e32 v4, vcc, v5, v4, vcc
	s_addc_u32 s52, s19, -1
	s_xor_b64 s[38:39], s[4:5], -1
	s_branch .LBB3_54
.LBB3_53:                               ;   in Loop: Header=BB3_54 Depth=1
	s_or_b64 exec, exec, s[40:41]
	v_mov_b32_e32 v5, s19
	v_add_co_u32_e32 v1, vcc, s18, v1
	v_addc_co_u32_e32 v2, vcc, v2, v5, vcc
	v_mov_b32_e32 v5, s50
	v_add_co_u32_e32 v3, vcc, s27, v3
	s_add_u32 s22, s22, s18
	v_addc_co_u32_e32 v4, vcc, v4, v5, vcc
	s_addc_u32 s23, s23, s19
	v_add_u32_e32 v12, 0x200, v12
	s_and_b64 vcc, exec, s[2:3]
	s_mov_b32 s53, s54
	s_waitcnt vmcnt(0)
	s_barrier
	s_cbranch_vccnz .LBB3_98
.LBB3_54:                               ; =>This Loop Header: Depth=1
                                        ;     Child Loop BB3_59 Depth 2
                                        ;     Child Loop BB3_68 Depth 2
                                        ;       Child Loop BB3_71 Depth 3
	v_add_u32_e32 v13, s53, v0
	v_cmp_le_i32_e32 vcc, s25, v13
	v_cmp_gt_i32_e64 s[0:1], s25, v13
	s_and_saveexec_b64 s[40:41], s[0:1]
	s_cbranch_execz .LBB3_56
; %bb.55:                               ;   in Loop: Header=BB3_54 Depth=1
	v_mad_u64_u32 v[5:6], s[2:3], s20, v13, 0
	v_mad_u64_u32 v[6:7], s[2:3], s21, v13, v[6:7]
	v_mov_b32_e32 v7, s33
	v_lshlrev_b64 v[5:6], 3, v[5:6]
	v_add_co_u32_e64 v5, s[2:3], s24, v5
	v_addc_co_u32_e64 v6, s[2:3], v7, v6, s[2:3]
	global_load_dwordx2 v[5:6], v[5:6], off
	s_waitcnt vmcnt(0)
	ds_write_b64 v11, v[5:6]
.LBB3_56:                               ;   in Loop: Header=BB3_54 Depth=1
	s_or_b64 exec, exec, s[40:41]
	v_mov_b32_e32 v5, s22
	v_mov_b32_e32 v8, v2
	v_subrev_u32_e32 v9, s26, v13
	s_mov_b32 s42, 0
	s_movk_i32 s43, 0x1000
	v_mov_b32_e32 v6, s23
	s_xor_b64 s[40:41], vcc, -1
	v_mov_b32_e32 v7, v1
	s_waitcnt lgkmcnt(0)
	s_barrier
	s_branch .LBB3_59
.LBB3_57:                               ;   in Loop: Header=BB3_59 Depth=2
	s_or_b64 exec, exec, s[2:3]
	v_add_co_u32_e32 v7, vcc, 8, v7
	s_add_i32 s42, s42, 1
	s_add_i32 s43, s43, 8
	v_addc_co_u32_e32 v8, vcc, 0, v8, vcc
	v_mov_b32_e32 v10, s17
	v_add_co_u32_e32 v5, vcc, s16, v5
	s_cmpk_eq_i32 s42, 0x200
	v_addc_co_u32_e32 v6, vcc, v6, v10, vcc
	s_cselect_b64 s[2:3], -1, 0
.LBB3_58:                               ;   in Loop: Header=BB3_59 Depth=2
	s_and_b64 vcc, exec, s[2:3]
	s_cbranch_vccnz .LBB3_64
.LBB3_59:                               ;   Parent Loop BB3_54 Depth=1
                                        ; =>  This Inner Loop Header: Depth=2
	s_add_i32 s44, s53, s42
	s_cmp_ge_i32 s44, s25
	s_mov_b64 s[2:3], -1
	s_cbranch_scc1 .LBB3_58
; %bb.60:                               ;   in Loop: Header=BB3_59 Depth=2
	v_cmp_eq_u32_e32 vcc, s42, v0
	s_and_b64 s[46:47], s[38:39], vcc
	s_and_saveexec_b64 s[2:3], s[46:47]
	s_cbranch_execz .LBB3_62
; %bb.61:                               ;   in Loop: Header=BB3_59 Depth=2
	global_load_dwordx2 v[14:15], v[5:6], off
	ds_read_b64 v[16:17], v11
	s_waitcnt vmcnt(0) lgkmcnt(0)
	v_div_scale_f64 v[18:19], s[46:47], v[14:15], v[14:15], v[16:17]
	v_div_scale_f64 v[24:25], vcc, v[16:17], v[14:15], v[16:17]
	v_rcp_f64_e32 v[20:21], v[18:19]
	v_fma_f64 v[22:23], -v[18:19], v[20:21], 1.0
	v_fma_f64 v[20:21], v[20:21], v[22:23], v[20:21]
	v_fma_f64 v[22:23], -v[18:19], v[20:21], 1.0
	v_fma_f64 v[20:21], v[20:21], v[22:23], v[20:21]
	v_mul_f64 v[22:23], v[24:25], v[20:21]
	v_fma_f64 v[18:19], -v[18:19], v[22:23], v[24:25]
	v_div_fmas_f64 v[18:19], v[18:19], v[20:21], v[22:23]
	v_div_fixup_f64 v[14:15], v[18:19], v[14:15], v[16:17]
	ds_write_b64 v11, v[14:15]
.LBB3_62:                               ;   in Loop: Header=BB3_59 Depth=2
	s_or_b64 exec, exec, s[2:3]
	v_cmp_lt_u32_e32 vcc, s42, v0
	v_cmp_ge_i32_e64 s[2:3], s44, v9
	s_and_b64 s[44:45], s[40:41], vcc
	s_and_b64 s[44:45], s[44:45], s[2:3]
	s_waitcnt lgkmcnt(0)
	s_barrier
	s_and_saveexec_b64 s[2:3], s[44:45]
	s_cbranch_execz .LBB3_57
; %bb.63:                               ;   in Loop: Header=BB3_59 Depth=2
	global_load_dwordx2 v[14:15], v[7:8], off
	v_mov_b32_e32 v10, s43
	ds_read_b64 v[16:17], v10
	ds_read_b64 v[18:19], v11
	s_waitcnt vmcnt(0) lgkmcnt(0)
	v_fma_f64 v[14:15], -v[14:15], v[16:17], v[18:19]
	ds_write_b64 v11, v[14:15]
	s_branch .LBB3_57
.LBB3_64:                               ;   in Loop: Header=BB3_54 Depth=1
	s_add_i32 s54, s53, 0x200
	s_cmp_ge_i32 s54, s25
	s_cselect_b64 s[2:3], -1, 0
	s_and_b64 vcc, exec, s[2:3]
	s_waitcnt lgkmcnt(0)
	s_barrier
	s_cbranch_vccnz .LBB3_96
; %bb.65:                               ;   in Loop: Header=BB3_54 Depth=1
	v_mad_i64_i32 v[5:6], s[40:41], v12, -8, v[3:4]
	s_mov_b64 s[40:41], 0
	v_mov_b32_e32 v14, v0
	s_mov_b32 s55, s54
                                        ; implicit-def: $sgpr42_sgpr43
	s_branch .LBB3_68
.LBB3_66:                               ;   in Loop: Header=BB3_68 Depth=2
	v_mad_u64_u32 v[9:10], s[46:47], s20, v15, 0
	s_addk_i32 s55, 0x200
	s_cmp_ge_i32 s55, s25
	v_mad_u64_u32 v[15:16], s[46:47], s21, v15, v[10:11]
	v_mov_b32_e32 v16, s33
	s_cselect_b64 s[46:47], -1, 0
	v_mov_b32_e32 v10, v15
	v_lshlrev_b64 v[9:10], 3, v[9:10]
	v_mov_b32_e32 v17, s52
	v_add_co_u32_e32 v9, vcc, s24, v9
	v_addc_co_u32_e32 v10, vcc, v16, v10, vcc
	global_load_dwordx2 v[15:16], v[9:10], off
	v_add_co_u32_e32 v5, vcc, s51, v5
	s_andn2_b64 s[42:43], s[42:43], exec
	s_and_b64 s[46:47], s[46:47], exec
	v_addc_co_u32_e32 v6, vcc, v6, v17, vcc
	s_or_b64 s[42:43], s[42:43], s[46:47]
	s_waitcnt vmcnt(0)
	v_add_f64 v[7:8], v[15:16], -v[7:8]
	global_store_dwordx2 v[9:10], v[7:8], off
.LBB3_67:                               ;   in Loop: Header=BB3_68 Depth=2
	s_or_b64 exec, exec, s[44:45]
	s_and_b64 s[44:45], exec, s[42:43]
	s_or_b64 s[40:41], s[44:45], s[40:41]
	s_andn2_b64 exec, exec, s[40:41]
	s_cbranch_execz .LBB3_95
.LBB3_68:                               ;   Parent Loop BB3_54 Depth=1
                                        ; =>  This Loop Header: Depth=2
                                        ;       Child Loop BB3_71 Depth 3
	v_add_u32_e32 v15, s55, v0
	v_cmp_gt_i32_e32 vcc, s25, v15
	s_or_b64 s[42:43], s[42:43], exec
	s_and_saveexec_b64 s[44:45], vcc
	s_cbranch_execz .LBB3_67
; %bb.69:                               ;   in Loop: Header=BB3_68 Depth=2
	v_mov_b32_e32 v7, 0
	v_mov_b32_e32 v10, v6
	v_subrev_u32_e32 v16, s26, v15
	v_add_u32_e32 v17, 0x1fd, v14
	v_add_u32_e32 v18, 0x1fe, v14
	;; [unrolled: 1-line block ×4, first 2 shown]
	v_mov_b32_e32 v8, 0
	s_mov_b32 s56, 0
	s_movk_i32 s57, 0x1000
	v_mov_b32_e32 v9, v5
	s_branch .LBB3_71
.LBB3_70:                               ;   in Loop: Header=BB3_71 Depth=3
	s_or_b64 exec, exec, s[46:47]
	s_add_i32 s56, s56, 4
	s_add_i32 s57, s57, 32
	v_add_co_u32_e32 v9, vcc, 32, v9
	s_cmpk_eq_i32 s56, 0x200
	v_addc_co_u32_e32 v10, vcc, 0, v10, vcc
	s_cbranch_scc1 .LBB3_66
.LBB3_71:                               ;   Parent Loop BB3_54 Depth=1
                                        ;     Parent Loop BB3_68 Depth=2
                                        ; =>    This Inner Loop Header: Depth=3
	v_cmp_ne_u32_e32 vcc, s56, v14
	s_add_i32 s58, s53, s56
	s_or_b64 s[46:47], s[38:39], vcc
	s_and_saveexec_b64 s[48:49], s[46:47]
	s_xor_b64 s[46:47], exec, s[48:49]
	s_cbranch_execz .LBB3_75
; %bb.72:                               ;   in Loop: Header=BB3_71 Depth=3
	s_cmp_lt_i32 s58, s25
	s_cselect_b64 s[48:49], -1, 0
	v_cmp_ge_i32_e32 vcc, s58, v16
	s_and_b64 s[60:61], s[48:49], vcc
	s_and_saveexec_b64 s[48:49], s[60:61]
	s_cbranch_execz .LBB3_74
; %bb.73:                               ;   in Loop: Header=BB3_71 Depth=3
	global_load_dwordx2 v[20:21], v[9:10], off
	v_mov_b32_e32 v22, s57
	ds_read_b64 v[22:23], v22
	s_waitcnt vmcnt(0) lgkmcnt(0)
	v_fma_f64 v[7:8], v[20:21], v[22:23], v[7:8]
.LBB3_74:                               ;   in Loop: Header=BB3_71 Depth=3
	s_or_b64 exec, exec, s[48:49]
.LBB3_75:                               ;   in Loop: Header=BB3_71 Depth=3
	s_andn2_saveexec_b64 s[46:47], s[46:47]
	s_cbranch_execz .LBB3_77
; %bb.76:                               ;   in Loop: Header=BB3_71 Depth=3
	v_mov_b32_e32 v20, s57
	ds_read_b64 v[20:21], v20
	s_waitcnt lgkmcnt(0)
	v_add_f64 v[7:8], v[7:8], v[20:21]
.LBB3_77:                               ;   in Loop: Header=BB3_71 Depth=3
	s_or_b64 exec, exec, s[46:47]
	v_cmp_ne_u32_e32 vcc, s56, v19
	s_or_b64 s[46:47], s[38:39], vcc
	s_and_saveexec_b64 s[48:49], s[46:47]
	s_xor_b64 s[46:47], exec, s[48:49]
	s_cbranch_execz .LBB3_81
; %bb.78:                               ;   in Loop: Header=BB3_71 Depth=3
	s_add_i32 s59, s58, 1
	s_cmp_lt_i32 s59, s25
	s_cselect_b64 s[48:49], -1, 0
	v_cmp_ge_i32_e32 vcc, s59, v16
	s_and_b64 s[60:61], s[48:49], vcc
	s_and_saveexec_b64 s[48:49], s[60:61]
	s_cbranch_execz .LBB3_80
; %bb.79:                               ;   in Loop: Header=BB3_71 Depth=3
	global_load_dwordx2 v[20:21], v[9:10], off offset:8
	v_mov_b32_e32 v22, s57
	ds_read_b64 v[22:23], v22 offset:8
	s_waitcnt vmcnt(0) lgkmcnt(0)
	v_fma_f64 v[7:8], v[20:21], v[22:23], v[7:8]
.LBB3_80:                               ;   in Loop: Header=BB3_71 Depth=3
	s_or_b64 exec, exec, s[48:49]
.LBB3_81:                               ;   in Loop: Header=BB3_71 Depth=3
	s_andn2_saveexec_b64 s[46:47], s[46:47]
	s_cbranch_execz .LBB3_83
; %bb.82:                               ;   in Loop: Header=BB3_71 Depth=3
	v_mov_b32_e32 v20, s57
	ds_read_b64 v[20:21], v20 offset:8
	s_waitcnt lgkmcnt(0)
	v_add_f64 v[7:8], v[7:8], v[20:21]
.LBB3_83:                               ;   in Loop: Header=BB3_71 Depth=3
	s_or_b64 exec, exec, s[46:47]
	v_cmp_ne_u32_e32 vcc, s56, v18
	s_or_b64 s[46:47], s[38:39], vcc
	s_and_saveexec_b64 s[48:49], s[46:47]
	s_xor_b64 s[46:47], exec, s[48:49]
	s_cbranch_execz .LBB3_87
; %bb.84:                               ;   in Loop: Header=BB3_71 Depth=3
	s_add_i32 s59, s58, 2
	s_cmp_lt_i32 s59, s25
	s_cselect_b64 s[48:49], -1, 0
	v_cmp_ge_i32_e32 vcc, s59, v16
	s_and_b64 s[60:61], s[48:49], vcc
	s_and_saveexec_b64 s[48:49], s[60:61]
	s_cbranch_execz .LBB3_86
; %bb.85:                               ;   in Loop: Header=BB3_71 Depth=3
	global_load_dwordx2 v[20:21], v[9:10], off offset:16
	v_mov_b32_e32 v22, s57
	ds_read_b64 v[22:23], v22 offset:16
	s_waitcnt vmcnt(0) lgkmcnt(0)
	v_fma_f64 v[7:8], v[20:21], v[22:23], v[7:8]
.LBB3_86:                               ;   in Loop: Header=BB3_71 Depth=3
	s_or_b64 exec, exec, s[48:49]
.LBB3_87:                               ;   in Loop: Header=BB3_71 Depth=3
	s_andn2_saveexec_b64 s[46:47], s[46:47]
	s_cbranch_execz .LBB3_89
; %bb.88:                               ;   in Loop: Header=BB3_71 Depth=3
	v_mov_b32_e32 v20, s57
	ds_read_b64 v[20:21], v20 offset:16
	s_waitcnt lgkmcnt(0)
	v_add_f64 v[7:8], v[7:8], v[20:21]
.LBB3_89:                               ;   in Loop: Header=BB3_71 Depth=3
	s_or_b64 exec, exec, s[46:47]
	v_cmp_ne_u32_e32 vcc, s56, v17
	s_or_b64 s[46:47], s[38:39], vcc
	s_and_saveexec_b64 s[48:49], s[46:47]
	s_xor_b64 s[46:47], exec, s[48:49]
	s_cbranch_execz .LBB3_93
; %bb.90:                               ;   in Loop: Header=BB3_71 Depth=3
	s_add_i32 s58, s58, 3
	s_cmp_lt_i32 s58, s25
	s_cselect_b64 s[48:49], -1, 0
	v_cmp_ge_i32_e32 vcc, s58, v16
	s_and_b64 s[58:59], s[48:49], vcc
	s_and_saveexec_b64 s[48:49], s[58:59]
	s_cbranch_execz .LBB3_92
; %bb.91:                               ;   in Loop: Header=BB3_71 Depth=3
	global_load_dwordx2 v[20:21], v[9:10], off offset:24
	v_mov_b32_e32 v22, s57
	ds_read_b64 v[22:23], v22 offset:24
	s_waitcnt vmcnt(0) lgkmcnt(0)
	v_fma_f64 v[7:8], v[20:21], v[22:23], v[7:8]
.LBB3_92:                               ;   in Loop: Header=BB3_71 Depth=3
	s_or_b64 exec, exec, s[48:49]
.LBB3_93:                               ;   in Loop: Header=BB3_71 Depth=3
	s_andn2_saveexec_b64 s[46:47], s[46:47]
	s_cbranch_execz .LBB3_70
; %bb.94:                               ;   in Loop: Header=BB3_71 Depth=3
	v_mov_b32_e32 v20, s57
	ds_read_b64 v[20:21], v20 offset:24
	s_waitcnt lgkmcnt(0)
	v_add_f64 v[7:8], v[7:8], v[20:21]
	s_branch .LBB3_70
.LBB3_95:                               ;   in Loop: Header=BB3_54 Depth=1
	s_or_b64 exec, exec, s[40:41]
.LBB3_96:                               ;   in Loop: Header=BB3_54 Depth=1
	s_and_saveexec_b64 s[40:41], s[0:1]
	s_cbranch_execz .LBB3_53
; %bb.97:                               ;   in Loop: Header=BB3_54 Depth=1
	v_mad_u64_u32 v[5:6], s[0:1], s20, v13, 0
	v_mov_b32_e32 v9, s33
	v_mad_u64_u32 v[6:7], s[0:1], s21, v13, v[6:7]
	ds_read_b64 v[7:8], v11
	v_lshlrev_b64 v[5:6], 3, v[5:6]
	v_add_co_u32_e32 v5, vcc, s24, v5
	v_addc_co_u32_e32 v6, vcc, v9, v6, vcc
	s_waitcnt lgkmcnt(0)
	global_store_dwordx2 v[5:6], v[7:8], off
	s_branch .LBB3_53
.LBB3_98:
	s_mov_b64 s[0:1], 0
.LBB3_99:
	s_andn2_b64 vcc, exec, s[0:1]
	s_cbranch_vccnz .LBB3_173
; %bb.100:
	s_mov_b64 s[0:1], -1
	s_and_b64 vcc, exec, s[36:37]
	s_cbranch_vccz .LBB3_137
; %bb.101:
	s_andn2_b64 vcc, exec, s[6:7]
	s_cbranch_vccnz .LBB3_136
; %bb.102:
	s_lshl_b64 s[16:17], s[12:13], 12
	s_lshl_b64 s[18:19], s[12:13], 3
	s_add_u32 s0, s28, s18
	s_addc_u32 s1, s29, s19
	s_add_u32 s0, s0, s30
	s_addc_u32 s1, s1, s31
	;; [unrolled: 2-line block ×3, first 2 shown]
	s_add_u32 s22, s0, -8
	s_addc_u32 s23, s1, -1
	s_lshl_b64 s[0:1], s[12:13], 4
	s_add_u32 s27, s0, -16
	v_lshlrev_b32_e32 v7, 3, v0
	v_or_b32_e32 v8, 0x200, v0
	s_addc_u32 s58, s1, -1
	s_mov_b32 s59, 0
	s_mov_b64 s[36:37], 0
	s_xor_b64 s[38:39], s[4:5], -1
	v_mov_b32_e32 v2, 0
	s_branch .LBB3_104
.LBB3_103:                              ;   in Loop: Header=BB3_104 Depth=1
	s_or_b64 exec, exec, s[40:41]
	s_add_u32 s34, s34, s16
	s_addc_u32 s35, s35, s17
	s_add_u32 s36, s36, 0xfffffe00
	s_addc_u32 s37, s37, -1
	s_add_u32 s22, s22, s16
	v_add_u32_e32 v8, 0x200, v8
	s_addc_u32 s23, s23, s17
	s_and_b64 vcc, exec, s[2:3]
	s_mov_b32 s59, s60
	s_waitcnt vmcnt(0)
	s_barrier
	s_cbranch_vccnz .LBB3_136
.LBB3_104:                              ; =>This Loop Header: Depth=1
                                        ;     Child Loop BB3_108 Depth 2
                                        ;     Child Loop BB3_118 Depth 2
                                        ;       Child Loop BB3_121 Depth 3
	v_add_u32_e32 v9, s59, v0
	v_cmp_le_i32_e32 vcc, s25, v9
	v_cmp_gt_i32_e64 s[0:1], s25, v9
	s_and_saveexec_b64 s[40:41], s[0:1]
	s_cbranch_execz .LBB3_106
; %bb.105:                              ;   in Loop: Header=BB3_104 Depth=1
	v_mad_u64_u32 v[3:4], s[2:3], s20, v9, 0
	v_mov_b32_e32 v1, v4
	v_mad_u64_u32 v[4:5], s[2:3], s21, v9, v[1:2]
	v_mov_b32_e32 v1, s33
	v_lshlrev_b64 v[3:4], 3, v[3:4]
	v_add_co_u32_e64 v3, s[2:3], s24, v3
	v_addc_co_u32_e64 v4, s[2:3], v1, v4, s[2:3]
	global_load_dwordx2 v[3:4], v[3:4], off
	s_waitcnt vmcnt(0)
	ds_write_b64 v7, v[3:4]
.LBB3_106:                              ;   in Loop: Header=BB3_104 Depth=1
	s_or_b64 exec, exec, s[40:41]
	v_subrev_u32_e32 v3, s26, v9
	s_mov_b32 s44, 0
	s_xor_b64 s[40:41], vcc, -1
	s_mov_b64 s[42:43], s[34:35]
	v_mov_b32_e32 v1, v0
	s_mov_b32 s45, 0
	s_waitcnt lgkmcnt(0)
	s_barrier
	s_branch .LBB3_108
.LBB3_107:                              ;   in Loop: Header=BB3_108 Depth=2
	s_or_b64 exec, exec, s[2:3]
	s_add_i32 s45, s45, 1
	s_add_i32 s44, s44, 8
	s_add_u32 s42, s42, s18
	s_addc_u32 s43, s43, s19
	s_cmpk_eq_i32 s45, 0x200
	v_add_u32_e32 v1, -1, v1
	s_cselect_b64 s[2:3], -1, 0
	s_and_b64 vcc, exec, s[2:3]
	s_cbranch_vccnz .LBB3_114
.LBB3_108:                              ;   Parent Loop BB3_104 Depth=1
                                        ; =>  This Inner Loop Header: Depth=2
	s_add_i32 s46, s59, s45
	s_cmp_ge_i32 s46, s25
	s_cbranch_scc1 .LBB3_113
; %bb.109:                              ;   in Loop: Header=BB3_108 Depth=2
	v_cmp_eq_u32_e32 vcc, s45, v0
	s_and_b64 s[48:49], s[38:39], vcc
	s_and_saveexec_b64 s[2:3], s[48:49]
	s_cbranch_execz .LBB3_111
; %bb.110:                              ;   in Loop: Header=BB3_108 Depth=2
	global_load_dwordx2 v[4:5], v2, s[42:43]
	ds_read_b64 v[10:11], v7
	s_waitcnt vmcnt(0) lgkmcnt(0)
	v_div_scale_f64 v[12:13], s[48:49], v[4:5], v[4:5], v[10:11]
	v_div_scale_f64 v[18:19], vcc, v[10:11], v[4:5], v[10:11]
	v_rcp_f64_e32 v[14:15], v[12:13]
	v_fma_f64 v[16:17], -v[12:13], v[14:15], 1.0
	v_fma_f64 v[14:15], v[14:15], v[16:17], v[14:15]
	v_fma_f64 v[16:17], -v[12:13], v[14:15], 1.0
	v_fma_f64 v[14:15], v[14:15], v[16:17], v[14:15]
	v_mul_f64 v[16:17], v[18:19], v[14:15]
	v_fma_f64 v[12:13], -v[12:13], v[16:17], v[18:19]
	v_div_fmas_f64 v[12:13], v[12:13], v[14:15], v[16:17]
	v_div_fixup_f64 v[4:5], v[12:13], v[4:5], v[10:11]
	ds_write_b64 v7, v[4:5]
.LBB3_111:                              ;   in Loop: Header=BB3_108 Depth=2
	s_or_b64 exec, exec, s[2:3]
	v_cmp_lt_u32_e32 vcc, s45, v0
	v_cmp_ge_i32_e64 s[2:3], s46, v3
	s_and_b64 s[46:47], s[40:41], vcc
	s_and_b64 s[46:47], s[46:47], s[2:3]
	s_waitcnt lgkmcnt(0)
	s_barrier
	s_and_saveexec_b64 s[2:3], s[46:47]
	s_cbranch_execz .LBB3_107
; %bb.112:                              ;   in Loop: Header=BB3_108 Depth=2
	v_lshlrev_b64 v[4:5], 3, v[1:2]
	v_mov_b32_e32 v6, s43
	v_add_co_u32_e32 v4, vcc, s42, v4
	v_addc_co_u32_e32 v5, vcc, v6, v5, vcc
	global_load_dwordx2 v[4:5], v[4:5], off
	v_mov_b32_e32 v6, s44
	ds_read_b64 v[10:11], v6
	ds_read_b64 v[12:13], v7
	s_waitcnt vmcnt(0) lgkmcnt(0)
	v_fma_f64 v[4:5], -v[4:5], v[10:11], v[12:13]
	ds_write_b64 v7, v[4:5]
	s_branch .LBB3_107
.LBB3_113:                              ;   in Loop: Header=BB3_108 Depth=2
                                        ; implicit-def: $sgpr45
                                        ; implicit-def: $sgpr44
                                        ; implicit-def: $sgpr42_sgpr43
	s_cbranch_execz .LBB3_108
.LBB3_114:                              ;   in Loop: Header=BB3_104 Depth=1
	s_add_i32 s60, s59, 0x200
	s_cmp_ge_i32 s60, s25
	s_cselect_b64 s[2:3], -1, 0
	s_and_b64 vcc, exec, s[2:3]
	s_waitcnt lgkmcnt(0)
	s_barrier
	s_cbranch_vccnz .LBB3_134
; %bb.115:                              ;   in Loop: Header=BB3_104 Depth=1
	v_ashrrev_i32_e32 v1, 31, v8
	v_mov_b32_e32 v4, s37
	v_add_co_u32_e32 v3, vcc, s36, v8
	v_addc_co_u32_e32 v4, vcc, v4, v1, vcc
	v_lshlrev_b64 v[3:4], 3, v[3:4]
	s_mov_b64 s[40:41], 0
	s_mov_b64 s[42:43], s[34:35]
	;; [unrolled: 1-line block ×3, first 2 shown]
	v_mov_b32_e32 v1, v0
	s_mov_b32 s61, s60
                                        ; implicit-def: $sgpr46_sgpr47
	s_branch .LBB3_118
.LBB3_116:                              ;   in Loop: Header=BB3_118 Depth=2
	v_mad_u64_u32 v[11:12], s[50:51], s20, v10, 0
	s_addk_i32 s61, 0x200
	s_add_u32 s44, s44, 0x1000
	v_mad_u64_u32 v[12:13], s[50:51], s21, v10, v[12:13]
	v_mov_b32_e32 v13, s33
	s_addc_u32 s45, s45, 0
	v_lshlrev_b64 v[10:11], 3, v[11:12]
	s_add_u32 s42, s42, 0x1000
	v_add_co_u32_e32 v10, vcc, s24, v10
	v_addc_co_u32_e32 v11, vcc, v13, v11, vcc
	global_load_dwordx2 v[12:13], v[10:11], off
	s_addc_u32 s43, s43, 0
	s_cmp_ge_i32 s61, s25
	s_cselect_b64 s[50:51], -1, 0
	s_andn2_b64 s[46:47], s[46:47], exec
	s_and_b64 s[50:51], s[50:51], exec
	s_or_b64 s[46:47], s[46:47], s[50:51]
	s_waitcnt vmcnt(0)
	v_add_f64 v[5:6], v[12:13], -v[5:6]
	global_store_dwordx2 v[10:11], v[5:6], off
.LBB3_117:                              ;   in Loop: Header=BB3_118 Depth=2
	s_or_b64 exec, exec, s[48:49]
	s_and_b64 s[48:49], exec, s[46:47]
	s_or_b64 s[40:41], s[48:49], s[40:41]
	s_andn2_b64 exec, exec, s[40:41]
	s_cbranch_execz .LBB3_133
.LBB3_118:                              ;   Parent Loop BB3_104 Depth=1
                                        ; =>  This Loop Header: Depth=2
                                        ;       Child Loop BB3_121 Depth 3
	v_add_u32_e32 v10, s61, v0
	v_cmp_gt_i32_e32 vcc, s25, v10
	s_or_b64 s[46:47], s[46:47], exec
	s_and_saveexec_b64 s[48:49], vcc
	s_cbranch_execz .LBB3_117
; %bb.119:                              ;   in Loop: Header=BB3_118 Depth=2
	v_mov_b32_e32 v5, 0
	v_subrev_u32_e32 v11, s26, v10
	v_add_u32_e32 v12, 0x1ff, v1
	v_add_u32_e32 v1, 0x200, v1
	v_mov_b32_e32 v6, 0
	s_mov_b32 s62, 0
	s_mov_b64 s[50:51], s[42:43]
	s_mov_b64 s[52:53], s[44:45]
	s_mov_b32 s63, 0
	s_branch .LBB3_121
.LBB3_120:                              ;   in Loop: Header=BB3_121 Depth=3
	s_or_b64 exec, exec, s[54:55]
	s_add_i32 s63, s63, 2
	s_add_u32 s52, s52, s27
	s_addc_u32 s53, s53, s58
	s_add_i32 s62, s62, 16
	s_add_u32 s50, s50, s27
	s_addc_u32 s51, s51, s58
	s_cmpk_eq_i32 s63, 0x200
	s_cbranch_scc1 .LBB3_116
.LBB3_121:                              ;   Parent Loop BB3_104 Depth=1
                                        ;     Parent Loop BB3_118 Depth=2
                                        ; =>    This Inner Loop Header: Depth=3
	v_cmp_ne_u32_e32 vcc, s63, v1
	s_add_i32 s64, s59, s63
	s_or_b64 s[54:55], s[38:39], vcc
	s_and_saveexec_b64 s[56:57], s[54:55]
	s_xor_b64 s[54:55], exec, s[56:57]
	s_cbranch_execz .LBB3_125
; %bb.122:                              ;   in Loop: Header=BB3_121 Depth=3
	s_cmp_lt_i32 s64, s25
	s_cselect_b64 s[56:57], -1, 0
	v_cmp_ge_i32_e32 vcc, s64, v11
	s_and_b64 s[66:67], s[56:57], vcc
	s_and_saveexec_b64 s[56:57], s[66:67]
	s_cbranch_execz .LBB3_124
; %bb.123:                              ;   in Loop: Header=BB3_121 Depth=3
	v_mov_b32_e32 v14, s51
	v_add_co_u32_e32 v13, vcc, s50, v3
	v_addc_co_u32_e32 v14, vcc, v14, v4, vcc
	global_load_dwordx2 v[13:14], v[13:14], off
	v_mov_b32_e32 v15, s62
	ds_read_b64 v[15:16], v15
	s_waitcnt vmcnt(0) lgkmcnt(0)
	v_fma_f64 v[5:6], v[13:14], v[15:16], v[5:6]
.LBB3_124:                              ;   in Loop: Header=BB3_121 Depth=3
	s_or_b64 exec, exec, s[56:57]
.LBB3_125:                              ;   in Loop: Header=BB3_121 Depth=3
	s_andn2_saveexec_b64 s[54:55], s[54:55]
	s_cbranch_execz .LBB3_127
; %bb.126:                              ;   in Loop: Header=BB3_121 Depth=3
	v_mov_b32_e32 v13, s62
	ds_read_b64 v[13:14], v13
	s_waitcnt lgkmcnt(0)
	v_add_f64 v[5:6], v[5:6], v[13:14]
.LBB3_127:                              ;   in Loop: Header=BB3_121 Depth=3
	s_or_b64 exec, exec, s[54:55]
	v_cmp_ne_u32_e32 vcc, s63, v12
	s_or_b64 s[54:55], s[38:39], vcc
	s_and_saveexec_b64 s[56:57], s[54:55]
	s_xor_b64 s[54:55], exec, s[56:57]
	s_cbranch_execz .LBB3_131
; %bb.128:                              ;   in Loop: Header=BB3_121 Depth=3
	s_add_i32 s64, s64, 1
	s_cmp_lt_i32 s64, s25
	s_cselect_b64 s[56:57], -1, 0
	v_cmp_ge_i32_e32 vcc, s64, v11
	s_and_b64 s[64:65], s[56:57], vcc
	s_and_saveexec_b64 s[56:57], s[64:65]
	s_cbranch_execz .LBB3_130
; %bb.129:                              ;   in Loop: Header=BB3_121 Depth=3
	v_mov_b32_e32 v14, s53
	v_add_co_u32_e32 v13, vcc, s52, v3
	v_addc_co_u32_e32 v14, vcc, v14, v4, vcc
	global_load_dwordx2 v[13:14], v[13:14], off
	v_mov_b32_e32 v15, s62
	ds_read_b64 v[15:16], v15 offset:8
	s_waitcnt vmcnt(0) lgkmcnt(0)
	v_fma_f64 v[5:6], v[13:14], v[15:16], v[5:6]
.LBB3_130:                              ;   in Loop: Header=BB3_121 Depth=3
	s_or_b64 exec, exec, s[56:57]
.LBB3_131:                              ;   in Loop: Header=BB3_121 Depth=3
	s_andn2_saveexec_b64 s[54:55], s[54:55]
	s_cbranch_execz .LBB3_120
; %bb.132:                              ;   in Loop: Header=BB3_121 Depth=3
	v_mov_b32_e32 v13, s62
	ds_read_b64 v[13:14], v13 offset:8
	s_waitcnt lgkmcnt(0)
	v_add_f64 v[5:6], v[5:6], v[13:14]
	s_branch .LBB3_120
.LBB3_133:                              ;   in Loop: Header=BB3_104 Depth=1
	s_or_b64 exec, exec, s[40:41]
.LBB3_134:                              ;   in Loop: Header=BB3_104 Depth=1
	s_and_saveexec_b64 s[40:41], s[0:1]
	s_cbranch_execz .LBB3_103
; %bb.135:                              ;   in Loop: Header=BB3_104 Depth=1
	v_mad_u64_u32 v[3:4], s[0:1], s20, v9, 0
	v_mov_b32_e32 v1, v4
	v_mad_u64_u32 v[4:5], s[0:1], s21, v9, v[1:2]
	ds_read_b64 v[5:6], v7
	v_mov_b32_e32 v1, s33
	v_lshlrev_b64 v[3:4], 3, v[3:4]
	v_add_co_u32_e32 v3, vcc, s24, v3
	v_addc_co_u32_e32 v4, vcc, v1, v4, vcc
	s_waitcnt lgkmcnt(0)
	global_store_dwordx2 v[3:4], v[5:6], off
	s_branch .LBB3_103
.LBB3_136:
	s_mov_b64 s[0:1], 0
.LBB3_137:
	s_andn2_b64 vcc, exec, s[0:1]
	s_cbranch_vccnz .LBB3_173
; %bb.138:
	s_andn2_b64 vcc, exec, s[6:7]
	s_cbranch_vccnz .LBB3_173
; %bb.139:
	s_add_i32 s22, s25, 0xfffffe00
	s_add_i32 s6, s25, -1
	s_add_u32 s2, s28, s30
	s_addc_u32 s3, s29, s31
	s_ashr_i32 s27, s26, 31
	s_lshl_b64 s[0:1], s[26:27], 3
	s_add_u32 s2, s2, s0
	s_addc_u32 s3, s3, s1
	s_ashr_i32 s7, s6, 31
	s_lshl_b64 s[0:1], s[6:7], 3
	s_sub_u32 s0, s2, s0
	s_subb_u32 s1, s3, s1
	s_add_u32 s16, s8, s0
	s_addc_u32 s17, s9, s1
	s_lshl_b64 s[18:19], s[12:13], 3
	s_add_u32 s7, s18, 8
	s_addc_u32 s38, s19, 0
	s_add_u32 s0, s10, s14
	s_addc_u32 s1, s11, s15
	;; [unrolled: 2-line block ×3, first 2 shown]
	s_ashr_i32 s3, s25, 31
	s_mov_b32 s2, s25
	s_lshl_b64 s[0:1], s[0:1], 3
	s_lshl_b64 s[2:3], s[2:3], 3
	s_sub_u32 s0, s0, s2
	s_subb_u32 s1, s1, s3
	s_add_u32 s0, s8, s0
	s_addc_u32 s1, s9, s1
	s_add_u32 s8, s0, 0xff8
	s_addc_u32 s9, s1, 0
	s_add_i32 s27, s25, 0xfffffe01
	s_add_u32 s39, s0, 0x1000
	s_addc_u32 s40, s1, 0
	s_lshl_b64 s[0:1], s[12:13], 4
	v_mov_b32_e32 v1, 0x2000
	v_add_u32_e32 v2, s25, v0
	s_add_u32 s41, s0, -16
	v_lshl_or_b32 v8, v0, 3, v1
	v_add_u32_e32 v1, 0xfffffe00, v2
	v_add_u32_e32 v9, 0xfffffc00, v2
	s_addc_u32 s42, s1, -1
	v_mov_b32_e32 v3, 0
	s_xor_b64 s[4:5], s[4:5], -1
	s_branch .LBB3_141
.LBB3_140:                              ;   in Loop: Header=BB3_141 Depth=1
	s_or_b64 exec, exec, s[10:11]
	s_addk_i32 s6, 0xfe00
	s_add_u32 s16, s16, 0x1000
	s_addc_u32 s17, s17, 0
	s_addk_i32 s25, 0xfe00
	s_add_u32 s8, s8, 0x1000
	s_addc_u32 s9, s9, 0
	s_addk_i32 s27, 0xfe00
	s_add_u32 s39, s39, 0x1000
	v_add_u32_e32 v1, 0xfffffe00, v1
	v_add_u32_e32 v9, 0xfffffe00, v9
	s_addc_u32 s40, s40, 0
	s_and_b64 vcc, exec, s[2:3]
	s_mov_b32 s22, s43
	s_waitcnt vmcnt(0)
	s_barrier
	s_cbranch_vccnz .LBB3_173
.LBB3_141:                              ; =>This Loop Header: Depth=1
                                        ;     Child Loop BB3_146 Depth 2
                                        ;     Child Loop BB3_155 Depth 2
                                        ;       Child Loop BB3_158 Depth 3
	v_add_u32_e32 v10, s22, v0
	v_cmp_gt_i32_e32 vcc, 0, v10
	v_cmp_lt_i32_e64 s[0:1], -1, v10
	s_and_saveexec_b64 s[10:11], s[0:1]
	s_cbranch_execz .LBB3_143
; %bb.142:                              ;   in Loop: Header=BB3_141 Depth=1
	v_mad_u64_u32 v[4:5], s[2:3], s20, v10, 0
	v_mov_b32_e32 v2, v5
	v_mad_u64_u32 v[5:6], s[2:3], s21, v10, v[2:3]
	v_mov_b32_e32 v2, s33
	v_lshlrev_b64 v[4:5], 3, v[4:5]
	v_add_co_u32_e64 v4, s[2:3], s24, v4
	v_addc_co_u32_e64 v5, s[2:3], v2, v5, s[2:3]
	global_load_dwordx2 v[4:5], v[4:5], off
	s_waitcnt vmcnt(0)
	ds_write_b64 v8, v[4:5]
.LBB3_143:                              ;   in Loop: Header=BB3_141 Depth=1
	s_or_b64 exec, exec, s[10:11]
	v_mov_b32_e32 v2, v3
	v_lshlrev_b64 v[4:5], 3, v[1:2]
	v_mov_b32_e32 v2, s17
	v_add_co_u32_e64 v4, s[2:3], s16, v4
	v_mov_b32_e32 v6, s16
	v_addc_co_u32_e64 v5, s[2:3], v2, v5, s[2:3]
	v_add_u32_e32 v2, s26, v10
	s_movk_i32 s12, 0x1ff
	s_movk_i32 s13, 0x2ff8
	v_mov_b32_e32 v7, s17
	s_xor_b64 s[10:11], vcc, -1
	s_mov_b32 s14, s6
	s_waitcnt lgkmcnt(0)
	s_barrier
	s_branch .LBB3_146
.LBB3_144:                              ;   in Loop: Header=BB3_146 Depth=2
	s_or_b64 exec, exec, s[2:3]
	v_add_co_u32_e32 v4, vcc, 8, v4
	s_add_i32 s12, s12, -1
	s_add_i32 s13, s13, -8
	v_addc_co_u32_e32 v5, vcc, 0, v5, vcc
	s_add_i32 s14, s14, -1
	v_add_co_u32_e32 v6, vcc, 8, v6
	s_cmp_eq_u32 s12, -1
	v_addc_co_u32_e32 v7, vcc, 0, v7, vcc
	s_cselect_b64 s[2:3], -1, 0
.LBB3_145:                              ;   in Loop: Header=BB3_146 Depth=2
	s_and_b64 vcc, exec, s[2:3]
	s_cbranch_vccnz .LBB3_151
.LBB3_146:                              ;   Parent Loop BB3_141 Depth=1
                                        ; =>  This Inner Loop Header: Depth=2
	s_add_i32 s15, s6, s12
	s_addk_i32 s15, 0xfe01
	s_cmp_lt_i32 s15, 0
	s_mov_b64 s[2:3], -1
	s_cbranch_scc1 .LBB3_145
; %bb.147:                              ;   in Loop: Header=BB3_146 Depth=2
	v_cmp_eq_u32_e32 vcc, s12, v0
	s_and_b64 s[28:29], s[4:5], vcc
	s_and_saveexec_b64 s[2:3], s[28:29]
	s_cbranch_execz .LBB3_149
; %bb.148:                              ;   in Loop: Header=BB3_146 Depth=2
	s_mul_i32 s23, s38, s14
	s_mul_hi_u32 s28, s7, s14
	s_add_i32 s23, s28, s23
	s_mul_i32 s28, s7, s14
	v_mov_b32_e32 v12, s23
	v_add_co_u32_e32 v11, vcc, s28, v6
	v_addc_co_u32_e32 v12, vcc, v7, v12, vcc
	global_load_dwordx2 v[11:12], v[11:12], off
	ds_read_b64 v[13:14], v8
	s_waitcnt vmcnt(0) lgkmcnt(0)
	v_div_scale_f64 v[15:16], s[28:29], v[11:12], v[11:12], v[13:14]
	v_div_scale_f64 v[21:22], vcc, v[13:14], v[11:12], v[13:14]
	v_rcp_f64_e32 v[17:18], v[15:16]
	v_fma_f64 v[19:20], -v[15:16], v[17:18], 1.0
	v_fma_f64 v[17:18], v[17:18], v[19:20], v[17:18]
	v_fma_f64 v[19:20], -v[15:16], v[17:18], 1.0
	v_fma_f64 v[17:18], v[17:18], v[19:20], v[17:18]
	v_mul_f64 v[19:20], v[21:22], v[17:18]
	v_fma_f64 v[15:16], -v[15:16], v[19:20], v[21:22]
	v_div_fmas_f64 v[15:16], v[15:16], v[17:18], v[19:20]
	v_div_fixup_f64 v[11:12], v[15:16], v[11:12], v[13:14]
	ds_write_b64 v8, v[11:12]
.LBB3_149:                              ;   in Loop: Header=BB3_146 Depth=2
	s_or_b64 exec, exec, s[2:3]
	v_cmp_gt_u32_e32 vcc, s12, v0
	v_cmp_le_i32_e64 s[2:3], s15, v2
	s_and_b64 s[28:29], s[10:11], vcc
	s_and_b64 s[28:29], s[28:29], s[2:3]
	s_waitcnt lgkmcnt(0)
	s_barrier
	s_and_saveexec_b64 s[2:3], s[28:29]
	s_cbranch_execz .LBB3_144
; %bb.150:                              ;   in Loop: Header=BB3_146 Depth=2
	v_mov_b32_e32 v11, s14
	v_mad_u64_u32 v[11:12], s[28:29], s18, v11, v[4:5]
	s_mul_i32 s15, s19, s14
	v_mov_b32_e32 v13, s13
	v_add_u32_e32 v12, s15, v12
	global_load_dwordx2 v[11:12], v[11:12], off
	ds_read_b64 v[13:14], v13
	ds_read_b64 v[15:16], v8
	s_waitcnt vmcnt(0) lgkmcnt(0)
	v_fma_f64 v[11:12], -v[11:12], v[13:14], v[15:16]
	ds_write_b64 v8, v[11:12]
	s_branch .LBB3_144
.LBB3_151:                              ;   in Loop: Header=BB3_141 Depth=1
	s_add_i32 s43, s22, 0xfffffe00
	s_cmp_lt_i32 s22, 1
	s_cselect_b64 s[2:3], -1, 0
	s_and_b64 vcc, exec, s[2:3]
	s_waitcnt lgkmcnt(0)
	s_barrier
	s_cbranch_vccnz .LBB3_171
; %bb.152:                              ;   in Loop: Header=BB3_141 Depth=1
	s_mul_i32 s10, s19, s22
	s_mul_hi_u32 s11, s18, s22
	s_add_i32 s11, s11, s10
	s_mul_i32 s10, s18, s22
	s_add_u32 s10, s39, s10
	s_addc_u32 s11, s40, s11
	s_mov_b64 s[12:13], 0
	v_mov_b32_e32 v2, v9
	v_mov_b32_e32 v11, v0
	s_mov_b32 s44, s43
                                        ; implicit-def: $sgpr14_sgpr15
	s_branch .LBB3_155
.LBB3_153:                              ;   in Loop: Header=BB3_155 Depth=2
	v_mad_u64_u32 v[6:7], s[28:29], s20, v12, 0
	s_add_i32 s30, s44, 0xfffffe00
	s_cmp_lt_i32 s44, 1
	v_mad_u64_u32 v[12:13], s[28:29], s21, v12, v[7:8]
	v_mov_b32_e32 v13, s33
	s_cselect_b64 s[28:29], -1, 0
	v_mov_b32_e32 v7, v12
	v_lshlrev_b64 v[6:7], 3, v[6:7]
	s_andn2_b64 s[14:15], s[14:15], exec
	v_add_co_u32_e32 v6, vcc, s24, v6
	v_addc_co_u32_e32 v7, vcc, v13, v7, vcc
	global_load_dwordx2 v[12:13], v[6:7], off
	s_and_b64 s[28:29], s[28:29], exec
	v_add_u32_e32 v2, 0xfffffe00, v2
	s_or_b64 s[14:15], s[14:15], s[28:29]
	s_mov_b32 s44, s30
	s_waitcnt vmcnt(0)
	v_add_f64 v[4:5], v[12:13], -v[4:5]
	global_store_dwordx2 v[6:7], v[4:5], off
.LBB3_154:                              ;   in Loop: Header=BB3_155 Depth=2
	s_or_b64 exec, exec, s[22:23]
	s_and_b64 s[22:23], exec, s[14:15]
	s_or_b64 s[12:13], s[22:23], s[12:13]
	s_andn2_b64 exec, exec, s[12:13]
	s_cbranch_execz .LBB3_170
.LBB3_155:                              ;   Parent Loop BB3_141 Depth=1
                                        ; =>  This Loop Header: Depth=2
                                        ;       Child Loop BB3_158 Depth 3
	v_add_u32_e32 v12, s44, v0
	v_cmp_lt_i32_e32 vcc, -1, v12
	s_or_b64 s[14:15], s[14:15], exec
	s_and_saveexec_b64 s[22:23], vcc
	s_cbranch_execz .LBB3_154
; %bb.156:                              ;   in Loop: Header=BB3_155 Depth=2
	v_lshlrev_b64 v[6:7], 3, v[2:3]
	v_mov_b32_e32 v4, 0
	v_add_u32_e32 v13, s26, v12
	v_add_u32_e32 v14, 0xfffffdff, v11
	v_add_u32_e32 v11, 0xfffffe00, v11
	v_mov_b32_e32 v5, 0
	s_mov_b32 s45, 0
	s_movk_i32 s46, 0x2000
	s_mov_b64 s[28:29], s[10:11]
	s_mov_b32 s47, s27
	s_mov_b64 s[30:31], s[8:9]
	s_branch .LBB3_158
.LBB3_157:                              ;   in Loop: Header=BB3_158 Depth=3
	s_or_b64 exec, exec, s[34:35]
	s_add_i32 s45, s45, 2
	s_add_i32 s46, s46, 16
	s_add_u32 s30, s30, -16
	s_addc_u32 s31, s31, -1
	s_add_i32 s47, s47, 2
	s_add_u32 s28, s28, s41
	s_addc_u32 s29, s29, s42
	s_cmpk_eq_i32 s45, 0x200
	s_cbranch_scc1 .LBB3_153
.LBB3_158:                              ;   Parent Loop BB3_141 Depth=1
                                        ;     Parent Loop BB3_155 Depth=2
                                        ; =>    This Inner Loop Header: Depth=3
	v_cmp_ne_u32_e32 vcc, s45, v11
	s_add_i32 s48, s25, s45
	s_or_b64 s[34:35], s[4:5], vcc
	s_and_saveexec_b64 s[36:37], s[34:35]
	s_xor_b64 s[34:35], exec, s[36:37]
	s_cbranch_execz .LBB3_162
; %bb.159:                              ;   in Loop: Header=BB3_158 Depth=3
	s_add_i32 s36, s48, 0xfffffe00
	v_cmp_le_i32_e32 vcc, s36, v13
	s_and_saveexec_b64 s[36:37], vcc
	s_cbranch_execz .LBB3_161
; %bb.160:                              ;   in Loop: Header=BB3_158 Depth=3
	v_mov_b32_e32 v16, s29
	v_add_co_u32_e32 v15, vcc, s28, v6
	v_addc_co_u32_e32 v16, vcc, v16, v7, vcc
	global_load_dwordx2 v[15:16], v[15:16], off
	v_mov_b32_e32 v17, s46
	ds_read_b64 v[17:18], v17
	s_waitcnt vmcnt(0) lgkmcnt(0)
	v_fma_f64 v[4:5], v[15:16], v[17:18], v[4:5]
.LBB3_161:                              ;   in Loop: Header=BB3_158 Depth=3
	s_or_b64 exec, exec, s[36:37]
.LBB3_162:                              ;   in Loop: Header=BB3_158 Depth=3
	s_andn2_saveexec_b64 s[34:35], s[34:35]
	s_cbranch_execz .LBB3_164
; %bb.163:                              ;   in Loop: Header=BB3_158 Depth=3
	v_mov_b32_e32 v15, s46
	ds_read_b64 v[15:16], v15
	s_waitcnt lgkmcnt(0)
	v_add_f64 v[4:5], v[4:5], v[15:16]
.LBB3_164:                              ;   in Loop: Header=BB3_158 Depth=3
	s_or_b64 exec, exec, s[34:35]
	v_cmp_ne_u32_e32 vcc, s45, v14
	s_or_b64 s[34:35], s[4:5], vcc
	s_and_saveexec_b64 s[36:37], s[34:35]
	s_xor_b64 s[34:35], exec, s[36:37]
	s_cbranch_execz .LBB3_168
; %bb.165:                              ;   in Loop: Header=BB3_158 Depth=3
	s_addk_i32 s48, 0xfe01
	v_cmp_le_i32_e32 vcc, s48, v13
	s_and_saveexec_b64 s[36:37], vcc
	s_cbranch_execz .LBB3_167
; %bb.166:                              ;   in Loop: Header=BB3_158 Depth=3
	s_mul_i32 s48, s19, s47
	s_mul_hi_u32 s49, s18, s47
	s_add_i32 s49, s49, s48
	s_mul_i32 s48, s18, s47
	s_add_u32 s48, s30, s48
	s_addc_u32 s49, s31, s49
	v_mov_b32_e32 v16, s49
	v_add_co_u32_e32 v15, vcc, s48, v6
	v_addc_co_u32_e32 v16, vcc, v16, v7, vcc
	global_load_dwordx2 v[15:16], v[15:16], off
	v_mov_b32_e32 v17, s46
	ds_read_b64 v[17:18], v17 offset:8
	s_waitcnt vmcnt(0) lgkmcnt(0)
	v_fma_f64 v[4:5], v[15:16], v[17:18], v[4:5]
.LBB3_167:                              ;   in Loop: Header=BB3_158 Depth=3
	s_or_b64 exec, exec, s[36:37]
.LBB3_168:                              ;   in Loop: Header=BB3_158 Depth=3
	s_andn2_saveexec_b64 s[34:35], s[34:35]
	s_cbranch_execz .LBB3_157
; %bb.169:                              ;   in Loop: Header=BB3_158 Depth=3
	v_mov_b32_e32 v15, s46
	ds_read_b64 v[15:16], v15 offset:8
	s_waitcnt lgkmcnt(0)
	v_add_f64 v[4:5], v[4:5], v[15:16]
	s_branch .LBB3_157
.LBB3_170:                              ;   in Loop: Header=BB3_141 Depth=1
	s_or_b64 exec, exec, s[12:13]
.LBB3_171:                              ;   in Loop: Header=BB3_141 Depth=1
	s_and_saveexec_b64 s[10:11], s[0:1]
	s_cbranch_execz .LBB3_140
; %bb.172:                              ;   in Loop: Header=BB3_141 Depth=1
	v_mad_u64_u32 v[4:5], s[0:1], s20, v10, 0
	v_mov_b32_e32 v2, v5
	v_mad_u64_u32 v[5:6], s[0:1], s21, v10, v[2:3]
	ds_read_b64 v[6:7], v8
	v_mov_b32_e32 v2, s33
	v_lshlrev_b64 v[4:5], 3, v[4:5]
	v_add_co_u32_e32 v4, vcc, s24, v4
	v_addc_co_u32_e32 v5, vcc, v2, v5, vcc
	s_waitcnt lgkmcnt(0)
	global_store_dwordx2 v[4:5], v[6:7], off
	s_branch .LBB3_140
.LBB3_173:
	s_endpgm
	.section	.rodata,"a",@progbits
	.p2align	6, 0x0
	.amdhsa_kernel _ZL19rocblas_tbsv_kernelILb0ELi512EPKdPdEv18rocblas_operation_bbiiT1_lllT2_lll
		.amdhsa_group_segment_fixed_size 16384
		.amdhsa_private_segment_fixed_size 0
		.amdhsa_kernarg_size 80
		.amdhsa_user_sgpr_count 6
		.amdhsa_user_sgpr_private_segment_buffer 1
		.amdhsa_user_sgpr_dispatch_ptr 0
		.amdhsa_user_sgpr_queue_ptr 0
		.amdhsa_user_sgpr_kernarg_segment_ptr 1
		.amdhsa_user_sgpr_dispatch_id 0
		.amdhsa_user_sgpr_flat_scratch_init 0
		.amdhsa_user_sgpr_private_segment_size 0
		.amdhsa_uses_dynamic_stack 0
		.amdhsa_system_sgpr_private_segment_wavefront_offset 0
		.amdhsa_system_sgpr_workgroup_id_x 1
		.amdhsa_system_sgpr_workgroup_id_y 0
		.amdhsa_system_sgpr_workgroup_id_z 0
		.amdhsa_system_sgpr_workgroup_info 0
		.amdhsa_system_vgpr_workitem_id 0
		.amdhsa_next_free_vgpr 29
		.amdhsa_next_free_sgpr 68
		.amdhsa_reserve_vcc 1
		.amdhsa_reserve_flat_scratch 0
		.amdhsa_float_round_mode_32 0
		.amdhsa_float_round_mode_16_64 0
		.amdhsa_float_denorm_mode_32 3
		.amdhsa_float_denorm_mode_16_64 3
		.amdhsa_dx10_clamp 1
		.amdhsa_ieee_mode 1
		.amdhsa_fp16_overflow 0
		.amdhsa_exception_fp_ieee_invalid_op 0
		.amdhsa_exception_fp_denorm_src 0
		.amdhsa_exception_fp_ieee_div_zero 0
		.amdhsa_exception_fp_ieee_overflow 0
		.amdhsa_exception_fp_ieee_underflow 0
		.amdhsa_exception_fp_ieee_inexact 0
		.amdhsa_exception_int_div_zero 0
	.end_amdhsa_kernel
	.section	.text._ZL19rocblas_tbsv_kernelILb0ELi512EPKdPdEv18rocblas_operation_bbiiT1_lllT2_lll,"axG",@progbits,_ZL19rocblas_tbsv_kernelILb0ELi512EPKdPdEv18rocblas_operation_bbiiT1_lllT2_lll,comdat
.Lfunc_end3:
	.size	_ZL19rocblas_tbsv_kernelILb0ELi512EPKdPdEv18rocblas_operation_bbiiT1_lllT2_lll, .Lfunc_end3-_ZL19rocblas_tbsv_kernelILb0ELi512EPKdPdEv18rocblas_operation_bbiiT1_lllT2_lll
                                        ; -- End function
	.set _ZL19rocblas_tbsv_kernelILb0ELi512EPKdPdEv18rocblas_operation_bbiiT1_lllT2_lll.num_vgpr, 26
	.set _ZL19rocblas_tbsv_kernelILb0ELi512EPKdPdEv18rocblas_operation_bbiiT1_lllT2_lll.num_agpr, 0
	.set _ZL19rocblas_tbsv_kernelILb0ELi512EPKdPdEv18rocblas_operation_bbiiT1_lllT2_lll.numbered_sgpr, 68
	.set _ZL19rocblas_tbsv_kernelILb0ELi512EPKdPdEv18rocblas_operation_bbiiT1_lllT2_lll.num_named_barrier, 0
	.set _ZL19rocblas_tbsv_kernelILb0ELi512EPKdPdEv18rocblas_operation_bbiiT1_lllT2_lll.private_seg_size, 0
	.set _ZL19rocblas_tbsv_kernelILb0ELi512EPKdPdEv18rocblas_operation_bbiiT1_lllT2_lll.uses_vcc, 1
	.set _ZL19rocblas_tbsv_kernelILb0ELi512EPKdPdEv18rocblas_operation_bbiiT1_lllT2_lll.uses_flat_scratch, 0
	.set _ZL19rocblas_tbsv_kernelILb0ELi512EPKdPdEv18rocblas_operation_bbiiT1_lllT2_lll.has_dyn_sized_stack, 0
	.set _ZL19rocblas_tbsv_kernelILb0ELi512EPKdPdEv18rocblas_operation_bbiiT1_lllT2_lll.has_recursion, 0
	.set _ZL19rocblas_tbsv_kernelILb0ELi512EPKdPdEv18rocblas_operation_bbiiT1_lllT2_lll.has_indirect_call, 0
	.section	.AMDGPU.csdata,"",@progbits
; Kernel info:
; codeLenInByte = 5984
; TotalNumSgprs: 72
; NumVgprs: 26
; ScratchSize: 0
; MemoryBound: 0
; FloatMode: 240
; IeeeMode: 1
; LDSByteSize: 16384 bytes/workgroup (compile time only)
; SGPRBlocks: 8
; VGPRBlocks: 7
; NumSGPRsForWavesPerEU: 72
; NumVGPRsForWavesPerEU: 29
; Occupancy: 8
; WaveLimiterHint : 0
; COMPUTE_PGM_RSRC2:SCRATCH_EN: 0
; COMPUTE_PGM_RSRC2:USER_SGPR: 6
; COMPUTE_PGM_RSRC2:TRAP_HANDLER: 0
; COMPUTE_PGM_RSRC2:TGID_X_EN: 1
; COMPUTE_PGM_RSRC2:TGID_Y_EN: 0
; COMPUTE_PGM_RSRC2:TGID_Z_EN: 0
; COMPUTE_PGM_RSRC2:TIDIG_COMP_CNT: 0
	.section	.text._ZL19rocblas_tbsv_kernelILb1ELi512EPK19rocblas_complex_numIfEPS1_Ev18rocblas_operation_bbiiT1_lllT2_lll,"axG",@progbits,_ZL19rocblas_tbsv_kernelILb1ELi512EPK19rocblas_complex_numIfEPS1_Ev18rocblas_operation_bbiiT1_lllT2_lll,comdat
	.globl	_ZL19rocblas_tbsv_kernelILb1ELi512EPK19rocblas_complex_numIfEPS1_Ev18rocblas_operation_bbiiT1_lllT2_lll ; -- Begin function _ZL19rocblas_tbsv_kernelILb1ELi512EPK19rocblas_complex_numIfEPS1_Ev18rocblas_operation_bbiiT1_lllT2_lll
	.p2align	8
	.type	_ZL19rocblas_tbsv_kernelILb1ELi512EPK19rocblas_complex_numIfEPS1_Ev18rocblas_operation_bbiiT1_lllT2_lll,@function
_ZL19rocblas_tbsv_kernelILb1ELi512EPK19rocblas_complex_numIfEPS1_Ev18rocblas_operation_bbiiT1_lllT2_lll: ; @_ZL19rocblas_tbsv_kernelILb1ELi512EPK19rocblas_complex_numIfEPS1_Ev18rocblas_operation_bbiiT1_lllT2_lll
; %bb.0:
	s_load_dwordx2 s[0:1], s[4:5], 0x0
	s_load_dwordx4 s[24:27], s[4:5], 0x4
	s_load_dwordx16 s[8:23], s[4:5], 0x10
	s_waitcnt lgkmcnt(0)
	s_bitcmp1_b32 s1, 0
	s_cselect_b64 s[2:3], -1, 0
	s_xor_b64 s[36:37], s[2:3], -1
	s_bitcmp1_b32 s24, 8
	s_mul_i32 s1, s15, s6
	s_mul_hi_u32 s2, s14, s6
	s_cselect_b64 s[4:5], -1, 0
	s_add_i32 s15, s2, s1
	s_mul_i32 s14, s14, s6
	s_lshl_b64 s[28:29], s[14:15], 3
	s_add_u32 s1, s8, s28
	s_addc_u32 s2, s9, s29
	s_lshl_b64 s[30:31], s[10:11], 3
	s_add_u32 s34, s1, s30
	s_addc_u32 s35, s2, s31
	s_mul_i32 s1, s23, s6
	s_mul_hi_u32 s2, s22, s6
	s_add_i32 s3, s2, s1
	s_mul_i32 s2, s22, s6
	s_lshl_b64 s[2:3], s[2:3], 3
	s_add_u32 s1, s16, s2
	s_addc_u32 s6, s17, s3
	s_lshl_b64 s[2:3], s[18:19], 3
	s_add_u32 s24, s1, s2
	s_addc_u32 s33, s6, s3
	s_cmp_gt_i32 s25, 0
	s_cselect_b64 s[6:7], -1, 0
	s_cmpk_lg_i32 s0, 0x6f
	s_mov_b64 s[0:1], -1
	s_cbranch_scc0 .LBB4_107
; %bb.1:
	s_and_b64 vcc, exec, s[36:37]
	s_cbranch_vccz .LBB4_54
; %bb.2:
	s_andn2_b64 vcc, exec, s[6:7]
	s_cbranch_vccnz .LBB4_53
; %bb.3:
	s_add_i32 s42, s25, 0xfffffe00
	s_add_i32 s27, s25, -1
	s_add_u32 s2, s28, s30
	s_addc_u32 s3, s29, s31
	s_ashr_i32 s1, s25, 31
	s_mov_b32 s0, s25
	s_lshl_b64 s[0:1], s[0:1], 3
	s_add_u32 s0, s2, s0
	s_addc_u32 s1, s3, s1
	s_add_u32 s0, s8, s0
	v_mov_b32_e32 v1, 0x3000
	s_addc_u32 s1, s9, s1
	v_lshl_or_b32 v9, v0, 3, v1
	s_add_u32 s16, s0, 0xfffff000
	v_add_u32_e32 v1, s25, v0
	v_sub_u32_e32 v10, 0, v0
	s_addc_u32 s17, s1, -1
	v_add_u32_e32 v11, 0xfffffc00, v1
	s_lshl_b64 s[18:19], s[12:13], 3
	v_mov_b32_e32 v12, s35
	s_xor_b64 s[22:23], s[4:5], -1
	v_mov_b32_e32 v2, 0
	s_mov_b32 s48, s25
	s_branch .LBB4_5
.LBB4_4:                                ;   in Loop: Header=BB4_5 Depth=1
	s_or_b64 exec, exec, s[38:39]
	s_addk_i32 s27, 0xfe00
	s_addk_i32 s48, 0xfe00
	s_add_u32 s16, s16, 0xfffff000
	s_addc_u32 s17, s17, -1
	v_add_u32_e32 v11, 0xfffffe00, v11
	s_andn2_b64 vcc, exec, s[2:3]
	s_mov_b32 s42, s49
	s_waitcnt vmcnt(0)
	s_barrier
	s_cbranch_vccz .LBB4_53
.LBB4_5:                                ; =>This Loop Header: Depth=1
                                        ;     Child Loop BB4_10 Depth 2
                                        ;     Child Loop BB4_23 Depth 2
                                        ;       Child Loop BB4_26 Depth 3
	v_add_u32_e32 v13, s42, v0
	v_cmp_gt_i32_e32 vcc, 0, v13
	v_cmp_lt_i32_e64 s[0:1], -1, v13
	s_and_saveexec_b64 s[38:39], s[0:1]
	s_cbranch_execz .LBB4_7
; %bb.6:                                ;   in Loop: Header=BB4_5 Depth=1
	v_mad_u64_u32 v[3:4], s[2:3], s20, v13, 0
	v_mov_b32_e32 v1, v4
	v_mad_u64_u32 v[4:5], s[2:3], s21, v13, v[1:2]
	v_mov_b32_e32 v1, s33
	v_lshlrev_b64 v[3:4], 3, v[3:4]
	v_add_co_u32_e64 v3, s[2:3], s24, v3
	v_addc_co_u32_e64 v4, s[2:3], v1, v4, s[2:3]
	global_load_dwordx2 v[3:4], v[3:4], off
	s_waitcnt vmcnt(0)
	ds_write_b64 v9, v[3:4]
.LBB4_7:                                ;   in Loop: Header=BB4_5 Depth=1
	s_or_b64 exec, exec, s[38:39]
	v_ashrrev_i32_e32 v1, 31, v13
	v_mul_lo_u32 v5, s13, v13
	v_mul_lo_u32 v1, s12, v1
	v_mad_u64_u32 v[3:4], s[2:3], s12, v13, 0
	v_add_u32_e32 v14, s26, v13
	s_movk_i32 s43, 0x1ff
	v_add3_u32 v4, v4, v1, v5
	v_lshlrev_b64 v[3:4], 3, v[3:4]
	s_movk_i32 s44, 0x3ff8
	v_add_co_u32_e64 v15, s[2:3], s34, v3
	v_addc_co_u32_e64 v16, s[2:3], v12, v4, s[2:3]
	s_xor_b64 s[38:39], vcc, -1
	s_waitcnt lgkmcnt(0)
	s_barrier
	s_branch .LBB4_10
.LBB4_8:                                ;   in Loop: Header=BB4_10 Depth=2
	s_or_b64 exec, exec, s[2:3]
	s_add_i32 s43, s43, -1
	s_add_i32 s44, s44, -8
	s_cmp_eq_u32 s43, -1
	s_cselect_b64 s[2:3], -1, 0
.LBB4_9:                                ;   in Loop: Header=BB4_10 Depth=2
	s_and_b64 vcc, exec, s[2:3]
	s_cbranch_vccnz .LBB4_19
.LBB4_10:                               ;   Parent Loop BB4_5 Depth=1
                                        ; =>  This Inner Loop Header: Depth=2
	s_add_i32 s45, s27, s43
	s_addk_i32 s45, 0xfe01
	s_cmp_lt_i32 s45, 0
	s_mov_b64 s[2:3], -1
	s_cbranch_scc1 .LBB4_9
; %bb.11:                               ;   in Loop: Header=BB4_10 Depth=2
	v_add_u32_e32 v1, s43, v10
	v_cmp_eq_u32_e32 vcc, 0, v1
	s_and_b64 s[40:41], s[22:23], vcc
	s_and_saveexec_b64 s[2:3], s[40:41]
	s_cbranch_execz .LBB4_17
; %bb.12:                               ;   in Loop: Header=BB4_10 Depth=2
	s_mul_i32 s40, s13, s45
	s_mul_hi_u32 s41, s12, s45
	s_add_i32 s41, s41, s40
	s_mul_i32 s40, s12, s45
	s_lshl_b64 s[40:41], s[40:41], 3
	s_add_u32 s40, s34, s40
	s_addc_u32 s41, s35, s41
	global_load_dwordx2 v[5:6], v2, s[40:41]
	ds_read_b64 v[3:4], v9
	s_mov_b64 s[40:41], -1
                                        ; implicit-def: $vgpr7
	s_waitcnt vmcnt(0)
	v_cmp_ngt_f32_e64 s[46:47], |v5|, |v6|
	s_and_b64 vcc, exec, s[46:47]
	s_cbranch_vccz .LBB4_14
; %bb.13:                               ;   in Loop: Header=BB4_10 Depth=2
	v_div_scale_f32 v7, s[40:41], -v6, -v6, v5
	v_div_scale_f32 v8, vcc, v5, -v6, v5
	v_rcp_f32_e32 v17, v7
	v_fma_f32 v18, -v7, v17, 1.0
	v_fmac_f32_e32 v17, v18, v17
	v_mul_f32_e32 v18, v8, v17
	v_fma_f32 v19, -v7, v18, v8
	v_fmac_f32_e32 v18, v19, v17
	v_fma_f32 v7, -v7, v18, v8
	v_div_fmas_f32 v7, v7, v17, v18
	v_div_fixup_f32 v7, v7, -v6, v5
	v_fma_f32 v8, v5, v7, -v6
	v_div_scale_f32 v17, s[40:41], v8, v8, 1.0
	v_div_scale_f32 v18, vcc, 1.0, v8, 1.0
	s_mov_b64 s[40:41], 0
	v_rcp_f32_e32 v19, v17
	v_fma_f32 v20, -v17, v19, 1.0
	v_fmac_f32_e32 v19, v20, v19
	v_mul_f32_e32 v20, v18, v19
	v_fma_f32 v21, -v17, v20, v18
	v_fmac_f32_e32 v20, v21, v19
	v_fma_f32 v17, -v17, v20, v18
	v_div_fmas_f32 v17, v17, v19, v20
	s_waitcnt lgkmcnt(0)
	v_fma_f32 v18, v7, v3, v4
	v_fma_f32 v19, v7, v4, -v3
	v_div_fixup_f32 v8, v17, v8, 1.0
	v_mul_f32_e32 v7, v8, v18
	v_mul_f32_e32 v8, v8, v19
.LBB4_14:                               ;   in Loop: Header=BB4_10 Depth=2
	s_andn2_b64 vcc, exec, s[40:41]
	s_cbranch_vccnz .LBB4_16
; %bb.15:                               ;   in Loop: Header=BB4_10 Depth=2
	v_div_scale_f32 v7, s[40:41], v5, v5, -v6
	v_div_scale_f32 v8, vcc, -v6, v5, -v6
	v_rcp_f32_e32 v17, v7
	v_fma_f32 v18, -v7, v17, 1.0
	v_fmac_f32_e32 v17, v18, v17
	v_mul_f32_e32 v18, v8, v17
	v_fma_f32 v19, -v7, v18, v8
	v_fmac_f32_e32 v18, v19, v17
	v_fma_f32 v7, -v7, v18, v8
	v_div_fmas_f32 v7, v7, v17, v18
	v_div_fixup_f32 v7, v7, v5, -v6
	v_fma_f32 v5, -v6, v7, v5
	v_div_scale_f32 v6, s[40:41], v5, v5, 1.0
	v_div_scale_f32 v8, vcc, 1.0, v5, 1.0
	v_rcp_f32_e32 v17, v6
	v_fma_f32 v18, -v6, v17, 1.0
	v_fmac_f32_e32 v17, v18, v17
	v_mul_f32_e32 v18, v8, v17
	v_fma_f32 v19, -v6, v18, v8
	v_fmac_f32_e32 v18, v19, v17
	v_fma_f32 v6, -v6, v18, v8
	v_div_fmas_f32 v6, v6, v17, v18
	s_waitcnt lgkmcnt(0)
	v_fma_f32 v8, v7, v4, v3
	v_fma_f32 v3, -v7, v3, v4
	v_div_fixup_f32 v4, v6, v5, 1.0
	v_mul_f32_e32 v7, v4, v8
	v_mul_f32_e32 v8, v4, v3
.LBB4_16:                               ;   in Loop: Header=BB4_10 Depth=2
	ds_write_b64 v9, v[7:8]
.LBB4_17:                               ;   in Loop: Header=BB4_10 Depth=2
	s_or_b64 exec, exec, s[2:3]
	v_cmp_gt_u32_e32 vcc, s43, v0
	v_cmp_le_i32_e64 s[2:3], s45, v14
	s_and_b64 s[40:41], s[38:39], vcc
	s_and_b64 s[40:41], s[40:41], s[2:3]
	s_waitcnt lgkmcnt(0)
	s_barrier
	s_and_saveexec_b64 s[2:3], s[40:41]
	s_cbranch_execz .LBB4_8
; %bb.18:                               ;   in Loop: Header=BB4_10 Depth=2
	v_lshlrev_b64 v[3:4], 3, v[1:2]
	v_mov_b32_e32 v1, s44
	v_add_co_u32_e32 v3, vcc, v15, v3
	v_addc_co_u32_e32 v4, vcc, v16, v4, vcc
	global_load_dwordx2 v[3:4], v[3:4], off
	ds_read_b64 v[5:6], v1
	ds_read_b64 v[7:8], v9
	s_waitcnt vmcnt(0) lgkmcnt(1)
	v_mul_f32_e32 v1, v4, v6
	v_mul_f32_e32 v4, v4, v5
	v_fmac_f32_e32 v1, v3, v5
	v_fma_f32 v4, v3, v6, -v4
	s_waitcnt lgkmcnt(0)
	v_sub_f32_e32 v3, v7, v1
	v_sub_f32_e32 v4, v8, v4
	ds_write_b64 v9, v[3:4]
	s_branch .LBB4_8
.LBB4_19:                               ;   in Loop: Header=BB4_5 Depth=1
	s_add_i32 s49, s42, 0xfffffe00
	s_cmp_lt_i32 s42, 1
	s_cselect_b64 s[2:3], -1, 0
	s_and_b64 vcc, exec, s[2:3]
	s_waitcnt lgkmcnt(0)
	s_barrier
	s_cbranch_vccnz .LBB4_51
; %bb.20:                               ;   in Loop: Header=BB4_5 Depth=1
	v_mad_i64_i32 v[3:4], s[38:39], v11, -8, s[16:17]
	s_mov_b64 s[38:39], 0
	v_mov_b32_e32 v1, v11
	v_mov_b32_e32 v7, v0
	s_mov_b32 s50, s49
                                        ; implicit-def: $sgpr40_sgpr41
	s_branch .LBB4_23
.LBB4_21:                               ;   in Loop: Header=BB4_23 Depth=2
	v_mad_u64_u32 v[5:6], s[44:45], s20, v14, 0
	s_add_i32 s46, s50, 0xfffffe00
	s_cmp_lt_i32 s50, 1
	v_mad_u64_u32 v[16:17], s[44:45], s21, v14, v[6:7]
	v_mov_b32_e32 v14, s33
	s_cselect_b64 s[44:45], -1, 0
	v_mov_b32_e32 v6, v16
	v_lshlrev_b64 v[5:6], 3, v[5:6]
	s_andn2_b64 s[40:41], s[40:41], exec
	v_add_co_u32_e32 v5, vcc, s24, v5
	v_addc_co_u32_e32 v6, vcc, v14, v6, vcc
	global_load_dwordx2 v[16:17], v[5:6], off
	v_add_co_u32_e32 v3, vcc, 0x1000, v3
	s_and_b64 s[44:45], s[44:45], exec
	v_add_u32_e32 v1, 0xfffffe00, v1
	v_addc_co_u32_e32 v4, vcc, 0, v4, vcc
	s_or_b64 s[40:41], s[40:41], s[44:45]
	s_mov_b32 s50, s46
	s_waitcnt vmcnt(0)
	v_sub_f32_e32 v14, v16, v15
	v_sub_f32_e32 v15, v17, v8
	global_store_dwordx2 v[5:6], v[14:15], off
.LBB4_22:                               ;   in Loop: Header=BB4_23 Depth=2
	s_or_b64 exec, exec, s[42:43]
	s_and_b64 s[42:43], exec, s[40:41]
	s_or_b64 s[38:39], s[42:43], s[38:39]
	s_andn2_b64 exec, exec, s[38:39]
	s_cbranch_execz .LBB4_50
.LBB4_23:                               ;   Parent Loop BB4_5 Depth=1
                                        ; =>  This Loop Header: Depth=2
                                        ;       Child Loop BB4_26 Depth 3
	v_add_u32_e32 v14, s50, v0
	v_cmp_lt_i32_e32 vcc, -1, v14
	s_or_b64 s[40:41], s[40:41], exec
	s_and_saveexec_b64 s[42:43], vcc
	s_cbranch_execz .LBB4_22
; %bb.24:                               ;   in Loop: Header=BB4_23 Depth=2
	v_mad_u64_u32 v[5:6], s[44:45], s18, v1, v[3:4]
	v_add_u32_e32 v16, s26, v14
	v_add_u32_e32 v17, 0xfffffdfd, v7
	v_mad_u64_u32 v[20:21], s[44:45], s19, v1, v[6:7]
	v_add_u32_e32 v18, 0xfffffdfe, v7
	v_add_u32_e32 v19, 0xfffffdff, v7
	v_mov_b32_e32 v6, v20
	v_add_u32_e32 v7, 0xfffffe00, v7
	v_mov_b32_e32 v8, 0
	s_mov_b32 s51, 0
	s_movk_i32 s52, 0x3000
	v_mov_b32_e32 v15, 0
	s_branch .LBB4_26
.LBB4_25:                               ;   in Loop: Header=BB4_26 Depth=3
	s_or_b64 exec, exec, s[44:45]
	s_add_i32 s51, s51, 4
	s_add_i32 s52, s52, 32
	v_add_co_u32_e32 v5, vcc, 32, v5
	s_cmpk_eq_i32 s51, 0x200
	v_addc_co_u32_e32 v6, vcc, 0, v6, vcc
	s_cbranch_scc1 .LBB4_21
.LBB4_26:                               ;   Parent Loop BB4_5 Depth=1
                                        ;     Parent Loop BB4_23 Depth=2
                                        ; =>    This Inner Loop Header: Depth=3
	v_cmp_ne_u32_e32 vcc, s51, v7
	s_add_i32 s53, s48, s51
	s_or_b64 s[44:45], s[22:23], vcc
	s_and_saveexec_b64 s[46:47], s[44:45]
	s_xor_b64 s[44:45], exec, s[46:47]
	s_cbranch_execz .LBB4_30
; %bb.27:                               ;   in Loop: Header=BB4_26 Depth=3
	s_add_i32 s46, s53, 0xfffffe00
	v_cmp_le_i32_e32 vcc, s46, v16
	s_and_saveexec_b64 s[46:47], vcc
	s_cbranch_execz .LBB4_29
; %bb.28:                               ;   in Loop: Header=BB4_26 Depth=3
	global_load_dwordx2 v[20:21], v[5:6], off
	v_mov_b32_e32 v22, s52
	ds_read_b64 v[22:23], v22
	s_waitcnt vmcnt(0) lgkmcnt(0)
	v_mul_f32_e32 v24, v21, v23
	v_mul_f32_e32 v21, v21, v22
	v_fmac_f32_e32 v24, v20, v22
	v_fma_f32 v20, v20, v23, -v21
	v_add_f32_e32 v15, v15, v24
	v_add_f32_e32 v8, v8, v20
.LBB4_29:                               ;   in Loop: Header=BB4_26 Depth=3
	s_or_b64 exec, exec, s[46:47]
.LBB4_30:                               ;   in Loop: Header=BB4_26 Depth=3
	s_andn2_saveexec_b64 s[44:45], s[44:45]
	s_cbranch_execz .LBB4_32
; %bb.31:                               ;   in Loop: Header=BB4_26 Depth=3
	v_mov_b32_e32 v20, s52
	ds_read_b64 v[20:21], v20
	s_waitcnt lgkmcnt(0)
	v_add_f32_e32 v15, v15, v20
	v_add_f32_e32 v8, v8, v21
.LBB4_32:                               ;   in Loop: Header=BB4_26 Depth=3
	s_or_b64 exec, exec, s[44:45]
	v_cmp_ne_u32_e32 vcc, s51, v19
	s_or_b64 s[44:45], s[22:23], vcc
	s_and_saveexec_b64 s[46:47], s[44:45]
	s_xor_b64 s[44:45], exec, s[46:47]
	s_cbranch_execz .LBB4_36
; %bb.33:                               ;   in Loop: Header=BB4_26 Depth=3
	s_add_i32 s46, s53, 0xfffffe01
	v_cmp_le_i32_e32 vcc, s46, v16
	s_and_saveexec_b64 s[46:47], vcc
	s_cbranch_execz .LBB4_35
; %bb.34:                               ;   in Loop: Header=BB4_26 Depth=3
	global_load_dwordx2 v[20:21], v[5:6], off offset:8
	v_mov_b32_e32 v22, s52
	ds_read_b64 v[22:23], v22 offset:8
	s_waitcnt vmcnt(0) lgkmcnt(0)
	v_mul_f32_e32 v24, v21, v23
	v_mul_f32_e32 v21, v21, v22
	v_fmac_f32_e32 v24, v20, v22
	v_fma_f32 v20, v20, v23, -v21
	v_add_f32_e32 v15, v15, v24
	v_add_f32_e32 v8, v8, v20
.LBB4_35:                               ;   in Loop: Header=BB4_26 Depth=3
	s_or_b64 exec, exec, s[46:47]
.LBB4_36:                               ;   in Loop: Header=BB4_26 Depth=3
	s_andn2_saveexec_b64 s[44:45], s[44:45]
	s_cbranch_execz .LBB4_38
; %bb.37:                               ;   in Loop: Header=BB4_26 Depth=3
	v_mov_b32_e32 v20, s52
	ds_read_b64 v[20:21], v20 offset:8
	s_waitcnt lgkmcnt(0)
	v_add_f32_e32 v15, v15, v20
	v_add_f32_e32 v8, v8, v21
.LBB4_38:                               ;   in Loop: Header=BB4_26 Depth=3
	s_or_b64 exec, exec, s[44:45]
	v_cmp_ne_u32_e32 vcc, s51, v18
	s_or_b64 s[44:45], s[22:23], vcc
	s_and_saveexec_b64 s[46:47], s[44:45]
	s_xor_b64 s[44:45], exec, s[46:47]
	s_cbranch_execz .LBB4_42
; %bb.39:                               ;   in Loop: Header=BB4_26 Depth=3
	s_add_i32 s46, s53, 0xfffffe02
	v_cmp_le_i32_e32 vcc, s46, v16
	s_and_saveexec_b64 s[46:47], vcc
	s_cbranch_execz .LBB4_41
; %bb.40:                               ;   in Loop: Header=BB4_26 Depth=3
	global_load_dwordx2 v[20:21], v[5:6], off offset:16
	v_mov_b32_e32 v22, s52
	ds_read_b64 v[22:23], v22 offset:16
	s_waitcnt vmcnt(0) lgkmcnt(0)
	v_mul_f32_e32 v24, v21, v23
	v_mul_f32_e32 v21, v21, v22
	v_fmac_f32_e32 v24, v20, v22
	v_fma_f32 v20, v20, v23, -v21
	v_add_f32_e32 v15, v15, v24
	v_add_f32_e32 v8, v8, v20
.LBB4_41:                               ;   in Loop: Header=BB4_26 Depth=3
	s_or_b64 exec, exec, s[46:47]
.LBB4_42:                               ;   in Loop: Header=BB4_26 Depth=3
	s_andn2_saveexec_b64 s[44:45], s[44:45]
	s_cbranch_execz .LBB4_44
; %bb.43:                               ;   in Loop: Header=BB4_26 Depth=3
	v_mov_b32_e32 v20, s52
	ds_read_b64 v[20:21], v20 offset:16
	s_waitcnt lgkmcnt(0)
	v_add_f32_e32 v15, v15, v20
	v_add_f32_e32 v8, v8, v21
.LBB4_44:                               ;   in Loop: Header=BB4_26 Depth=3
	s_or_b64 exec, exec, s[44:45]
	v_cmp_ne_u32_e32 vcc, s51, v17
	s_or_b64 s[44:45], s[22:23], vcc
	s_and_saveexec_b64 s[46:47], s[44:45]
	s_xor_b64 s[44:45], exec, s[46:47]
	s_cbranch_execz .LBB4_48
; %bb.45:                               ;   in Loop: Header=BB4_26 Depth=3
	s_addk_i32 s53, 0xfe03
	v_cmp_le_i32_e32 vcc, s53, v16
	s_and_saveexec_b64 s[46:47], vcc
	s_cbranch_execz .LBB4_47
; %bb.46:                               ;   in Loop: Header=BB4_26 Depth=3
	global_load_dwordx2 v[20:21], v[5:6], off offset:24
	v_mov_b32_e32 v22, s52
	ds_read_b64 v[22:23], v22 offset:24
	s_waitcnt vmcnt(0) lgkmcnt(0)
	v_mul_f32_e32 v24, v21, v23
	v_mul_f32_e32 v21, v21, v22
	v_fmac_f32_e32 v24, v20, v22
	v_fma_f32 v20, v20, v23, -v21
	v_add_f32_e32 v15, v15, v24
	v_add_f32_e32 v8, v8, v20
.LBB4_47:                               ;   in Loop: Header=BB4_26 Depth=3
	s_or_b64 exec, exec, s[46:47]
.LBB4_48:                               ;   in Loop: Header=BB4_26 Depth=3
	s_andn2_saveexec_b64 s[44:45], s[44:45]
	s_cbranch_execz .LBB4_25
; %bb.49:                               ;   in Loop: Header=BB4_26 Depth=3
	v_mov_b32_e32 v20, s52
	ds_read_b64 v[20:21], v20 offset:24
	s_waitcnt lgkmcnt(0)
	v_add_f32_e32 v15, v15, v20
	v_add_f32_e32 v8, v8, v21
	s_branch .LBB4_25
.LBB4_50:                               ;   in Loop: Header=BB4_5 Depth=1
	s_or_b64 exec, exec, s[38:39]
.LBB4_51:                               ;   in Loop: Header=BB4_5 Depth=1
	s_and_saveexec_b64 s[38:39], s[0:1]
	s_cbranch_execz .LBB4_4
; %bb.52:                               ;   in Loop: Header=BB4_5 Depth=1
	v_mad_u64_u32 v[3:4], s[0:1], s20, v13, 0
	v_mov_b32_e32 v1, v4
	v_mad_u64_u32 v[4:5], s[0:1], s21, v13, v[1:2]
	ds_read_b64 v[5:6], v9
	v_mov_b32_e32 v1, s33
	v_lshlrev_b64 v[3:4], 3, v[3:4]
	v_add_co_u32_e32 v3, vcc, s24, v3
	v_addc_co_u32_e32 v4, vcc, v1, v4, vcc
	s_waitcnt lgkmcnt(0)
	global_store_dwordx2 v[3:4], v[5:6], off
	s_branch .LBB4_4
.LBB4_53:
	s_mov_b64 s[0:1], 0
.LBB4_54:
	s_andn2_b64 vcc, exec, s[0:1]
	s_cbranch_vccnz .LBB4_106
; %bb.55:
	s_andn2_b64 vcc, exec, s[6:7]
	s_cbranch_vccnz .LBB4_106
; %bb.56:
	s_ashr_i32 s27, s26, 31
	s_lshl_b64 s[16:17], s[12:13], 3
	s_add_u32 s18, s16, -8
	s_addc_u32 s22, s17, -1
	s_lshl_b64 s[0:1], s[26:27], 3
	s_add_u32 s2, s8, s0
	s_addc_u32 s3, s9, s1
	s_add_u32 s2, s2, s30
	s_addc_u32 s3, s3, s31
	;; [unrolled: 2-line block ×3, first 2 shown]
	v_mov_b32_e32 v1, s2
	v_mov_b32_e32 v2, s3
	v_mad_u64_u32 v[1:2], s[18:19], s18, v0, v[1:2]
	v_mov_b32_e32 v3, 0x1000
	v_lshl_or_b32 v15, v0, 3, v3
	v_mad_u64_u32 v[2:3], s[18:19], s22, v0, v[2:3]
	s_lshl_b64 s[18:19], s[12:13], 12
	v_or_b32_e32 v16, 0x200, v0
	s_add_u32 s27, s28, s30
	v_mad_u64_u32 v[3:4], s[22:23], s12, v16, 0
	s_addc_u32 s38, s29, s31
	s_add_u32 s0, s27, s0
	s_addc_u32 s22, s38, s1
	s_add_u32 s23, s8, s0
	v_mad_u64_u32 v[4:5], s[0:1], s13, v16, v[4:5]
	s_addc_u32 s0, s9, s22
	v_add_co_u32_e32 v1, vcc, 4, v1
	s_add_u32 s22, s23, 4
	v_lshlrev_b64 v[3:4], 3, v[3:4]
	v_addc_co_u32_e32 v2, vcc, 0, v2, vcc
	s_addc_u32 s23, s0, 0
	v_mov_b32_e32 v5, s3
	v_add_co_u32_e32 v3, vcc, s2, v3
	s_add_u32 s27, s18, 0x1000
	v_addc_co_u32_e32 v4, vcc, v5, v4, vcc
	s_addc_u32 s50, s19, 0
	v_add_co_u32_e32 v3, vcc, 16, v3
	s_add_u32 s51, s18, 0xfffff000
	v_addc_co_u32_e32 v4, vcc, 0, v4, vcc
	s_addc_u32 s52, s19, -1
	s_mov_b32 s53, 0
	s_xor_b64 s[38:39], s[4:5], -1
	s_branch .LBB4_58
.LBB4_57:                               ;   in Loop: Header=BB4_58 Depth=1
	s_or_b64 exec, exec, s[40:41]
	v_mov_b32_e32 v5, s19
	v_add_co_u32_e32 v1, vcc, s18, v1
	v_addc_co_u32_e32 v2, vcc, v2, v5, vcc
	v_mov_b32_e32 v5, s50
	v_add_co_u32_e32 v3, vcc, s27, v3
	s_add_u32 s22, s22, s18
	v_addc_co_u32_e32 v4, vcc, v4, v5, vcc
	s_addc_u32 s23, s23, s19
	v_add_u32_e32 v16, 0x200, v16
	s_and_b64 vcc, exec, s[2:3]
	s_mov_b32 s53, s54
	s_waitcnt vmcnt(0)
	s_barrier
	s_cbranch_vccnz .LBB4_106
.LBB4_58:                               ; =>This Loop Header: Depth=1
                                        ;     Child Loop BB4_63 Depth 2
                                        ;     Child Loop BB4_76 Depth 2
                                        ;       Child Loop BB4_79 Depth 3
	v_add_u32_e32 v17, s53, v0
	v_cmp_le_i32_e32 vcc, s25, v17
	v_cmp_gt_i32_e64 s[0:1], s25, v17
	s_and_saveexec_b64 s[40:41], s[0:1]
	s_cbranch_execz .LBB4_60
; %bb.59:                               ;   in Loop: Header=BB4_58 Depth=1
	v_mad_u64_u32 v[5:6], s[2:3], s20, v17, 0
	v_mad_u64_u32 v[6:7], s[2:3], s21, v17, v[6:7]
	v_mov_b32_e32 v7, s33
	v_lshlrev_b64 v[5:6], 3, v[5:6]
	v_add_co_u32_e64 v5, s[2:3], s24, v5
	v_addc_co_u32_e64 v6, s[2:3], v7, v6, s[2:3]
	global_load_dwordx2 v[5:6], v[5:6], off
	s_waitcnt vmcnt(0)
	ds_write_b64 v15, v[5:6]
.LBB4_60:                               ;   in Loop: Header=BB4_58 Depth=1
	s_or_b64 exec, exec, s[40:41]
	v_mov_b32_e32 v5, s22
	v_mov_b32_e32 v8, v2
	v_subrev_u32_e32 v18, s26, v17
	s_mov_b32 s44, 0
	s_movk_i32 s45, 0x1000
	v_mov_b32_e32 v6, s23
	s_xor_b64 s[40:41], vcc, -1
	v_mov_b32_e32 v7, v1
	s_waitcnt lgkmcnt(0)
	s_barrier
	s_branch .LBB4_63
.LBB4_61:                               ;   in Loop: Header=BB4_63 Depth=2
	s_or_b64 exec, exec, s[2:3]
	v_add_co_u32_e32 v7, vcc, 8, v7
	s_add_i32 s44, s44, 1
	s_add_i32 s45, s45, 8
	v_addc_co_u32_e32 v8, vcc, 0, v8, vcc
	v_mov_b32_e32 v9, s17
	v_add_co_u32_e32 v5, vcc, s16, v5
	s_cmpk_eq_i32 s44, 0x200
	v_addc_co_u32_e32 v6, vcc, v6, v9, vcc
	s_cselect_b64 s[2:3], -1, 0
.LBB4_62:                               ;   in Loop: Header=BB4_63 Depth=2
	s_and_b64 vcc, exec, s[2:3]
	s_cbranch_vccnz .LBB4_72
.LBB4_63:                               ;   Parent Loop BB4_58 Depth=1
                                        ; =>  This Inner Loop Header: Depth=2
	s_add_i32 s46, s53, s44
	s_cmp_ge_i32 s46, s25
	s_mov_b64 s[2:3], -1
	s_cbranch_scc1 .LBB4_62
; %bb.64:                               ;   in Loop: Header=BB4_63 Depth=2
	v_cmp_eq_u32_e32 vcc, s44, v0
	s_and_b64 s[42:43], s[38:39], vcc
	s_and_saveexec_b64 s[2:3], s[42:43]
	s_cbranch_execz .LBB4_70
; %bb.65:                               ;   in Loop: Header=BB4_63 Depth=2
	global_load_dwordx2 v[11:12], v[5:6], off offset:-4
	ds_read_b64 v[9:10], v15
	s_mov_b64 s[42:43], -1
                                        ; implicit-def: $vgpr13
	s_waitcnt vmcnt(0)
	v_cmp_ngt_f32_e64 s[48:49], |v11|, |v12|
	s_and_b64 vcc, exec, s[48:49]
	s_cbranch_vccz .LBB4_67
; %bb.66:                               ;   in Loop: Header=BB4_63 Depth=2
	v_div_scale_f32 v13, s[42:43], -v12, -v12, v11
	v_div_scale_f32 v14, vcc, v11, -v12, v11
	v_rcp_f32_e32 v19, v13
	v_fma_f32 v20, -v13, v19, 1.0
	v_fmac_f32_e32 v19, v20, v19
	v_mul_f32_e32 v20, v14, v19
	v_fma_f32 v21, -v13, v20, v14
	v_fmac_f32_e32 v20, v21, v19
	v_fma_f32 v13, -v13, v20, v14
	v_div_fmas_f32 v13, v13, v19, v20
	v_div_fixup_f32 v13, v13, -v12, v11
	v_fma_f32 v14, v11, v13, -v12
	v_div_scale_f32 v19, s[42:43], v14, v14, 1.0
	v_div_scale_f32 v20, vcc, 1.0, v14, 1.0
	s_mov_b64 s[42:43], 0
	v_rcp_f32_e32 v21, v19
	v_fma_f32 v22, -v19, v21, 1.0
	v_fmac_f32_e32 v21, v22, v21
	v_mul_f32_e32 v22, v20, v21
	v_fma_f32 v23, -v19, v22, v20
	v_fmac_f32_e32 v22, v23, v21
	v_fma_f32 v19, -v19, v22, v20
	v_div_fmas_f32 v19, v19, v21, v22
	s_waitcnt lgkmcnt(0)
	v_fma_f32 v20, v13, v9, v10
	v_fma_f32 v21, v13, v10, -v9
	v_div_fixup_f32 v14, v19, v14, 1.0
	v_mul_f32_e32 v13, v14, v20
	v_mul_f32_e32 v14, v14, v21
.LBB4_67:                               ;   in Loop: Header=BB4_63 Depth=2
	s_andn2_b64 vcc, exec, s[42:43]
	s_cbranch_vccnz .LBB4_69
; %bb.68:                               ;   in Loop: Header=BB4_63 Depth=2
	v_div_scale_f32 v13, s[42:43], v11, v11, -v12
	v_div_scale_f32 v14, vcc, -v12, v11, -v12
	v_rcp_f32_e32 v19, v13
	v_fma_f32 v20, -v13, v19, 1.0
	v_fmac_f32_e32 v19, v20, v19
	v_mul_f32_e32 v20, v14, v19
	v_fma_f32 v21, -v13, v20, v14
	v_fmac_f32_e32 v20, v21, v19
	v_fma_f32 v13, -v13, v20, v14
	v_div_fmas_f32 v13, v13, v19, v20
	v_div_fixup_f32 v13, v13, v11, -v12
	v_fma_f32 v11, -v12, v13, v11
	v_div_scale_f32 v12, s[42:43], v11, v11, 1.0
	v_div_scale_f32 v14, vcc, 1.0, v11, 1.0
	v_rcp_f32_e32 v19, v12
	v_fma_f32 v20, -v12, v19, 1.0
	v_fmac_f32_e32 v19, v20, v19
	v_mul_f32_e32 v20, v14, v19
	v_fma_f32 v21, -v12, v20, v14
	v_fmac_f32_e32 v20, v21, v19
	v_fma_f32 v12, -v12, v20, v14
	v_div_fmas_f32 v12, v12, v19, v20
	s_waitcnt lgkmcnt(0)
	v_fma_f32 v14, v13, v10, v9
	v_fma_f32 v9, -v13, v9, v10
	v_div_fixup_f32 v10, v12, v11, 1.0
	v_mul_f32_e32 v13, v10, v14
	v_mul_f32_e32 v14, v10, v9
.LBB4_69:                               ;   in Loop: Header=BB4_63 Depth=2
	ds_write_b64 v15, v[13:14]
.LBB4_70:                               ;   in Loop: Header=BB4_63 Depth=2
	s_or_b64 exec, exec, s[2:3]
	v_cmp_lt_u32_e32 vcc, s44, v0
	v_cmp_ge_i32_e64 s[2:3], s46, v18
	s_and_b64 s[42:43], s[40:41], vcc
	s_and_b64 s[42:43], s[42:43], s[2:3]
	s_waitcnt lgkmcnt(0)
	s_barrier
	s_and_saveexec_b64 s[2:3], s[42:43]
	s_cbranch_execz .LBB4_61
; %bb.71:                               ;   in Loop: Header=BB4_63 Depth=2
	global_load_dwordx2 v[9:10], v[7:8], off offset:-4
	v_mov_b32_e32 v11, s45
	ds_read_b64 v[11:12], v11
	ds_read_b64 v[13:14], v15
	s_waitcnt vmcnt(0) lgkmcnt(1)
	v_mul_f32_e32 v19, v10, v12
	v_mul_f32_e32 v10, v10, v11
	v_fmac_f32_e32 v19, v9, v11
	v_fma_f32 v10, v9, v12, -v10
	s_waitcnt lgkmcnt(0)
	v_sub_f32_e32 v9, v13, v19
	v_sub_f32_e32 v10, v14, v10
	ds_write_b64 v15, v[9:10]
	s_branch .LBB4_61
.LBB4_72:                               ;   in Loop: Header=BB4_58 Depth=1
	s_add_i32 s54, s53, 0x200
	s_cmp_ge_i32 s54, s25
	s_cselect_b64 s[2:3], -1, 0
	s_and_b64 vcc, exec, s[2:3]
	s_waitcnt lgkmcnt(0)
	s_barrier
	s_cbranch_vccnz .LBB4_104
; %bb.73:                               ;   in Loop: Header=BB4_58 Depth=1
	v_mad_i64_i32 v[5:6], s[40:41], v16, -8, v[3:4]
	s_mov_b64 s[40:41], 0
	v_mov_b32_e32 v9, v0
	s_mov_b32 s55, s54
                                        ; implicit-def: $sgpr42_sgpr43
	s_branch .LBB4_76
.LBB4_74:                               ;   in Loop: Header=BB4_76 Depth=2
	v_mad_u64_u32 v[7:8], s[46:47], s20, v12, 0
	s_addk_i32 s55, 0x200
	s_cmp_ge_i32 s55, s25
	v_mad_u64_u32 v[12:13], s[46:47], s21, v12, v[8:9]
	v_mov_b32_e32 v13, s33
	s_cselect_b64 s[46:47], -1, 0
	v_mov_b32_e32 v8, v12
	v_lshlrev_b64 v[7:8], 3, v[7:8]
	v_mov_b32_e32 v14, s52
	v_add_co_u32_e32 v7, vcc, s24, v7
	v_addc_co_u32_e32 v8, vcc, v13, v8, vcc
	global_load_dwordx2 v[12:13], v[7:8], off
	v_add_co_u32_e32 v5, vcc, s51, v5
	s_andn2_b64 s[42:43], s[42:43], exec
	s_and_b64 s[46:47], s[46:47], exec
	v_addc_co_u32_e32 v6, vcc, v6, v14, vcc
	s_or_b64 s[42:43], s[42:43], s[46:47]
	s_waitcnt vmcnt(0)
	v_sub_f32_e32 v11, v12, v11
	v_sub_f32_e32 v12, v13, v10
	global_store_dwordx2 v[7:8], v[11:12], off
.LBB4_75:                               ;   in Loop: Header=BB4_76 Depth=2
	s_or_b64 exec, exec, s[44:45]
	s_and_b64 s[44:45], exec, s[42:43]
	s_or_b64 s[40:41], s[44:45], s[40:41]
	s_andn2_b64 exec, exec, s[40:41]
	s_cbranch_execz .LBB4_103
.LBB4_76:                               ;   Parent Loop BB4_58 Depth=1
                                        ; =>  This Loop Header: Depth=2
                                        ;       Child Loop BB4_79 Depth 3
	v_add_u32_e32 v12, s55, v0
	v_cmp_gt_i32_e32 vcc, s25, v12
	s_or_b64 s[42:43], s[42:43], exec
	s_and_saveexec_b64 s[44:45], vcc
	s_cbranch_execz .LBB4_75
; %bb.77:                               ;   in Loop: Header=BB4_76 Depth=2
	v_mov_b32_e32 v8, v6
	v_subrev_u32_e32 v13, s26, v12
	v_add_u32_e32 v14, 0x1fd, v9
	v_add_u32_e32 v18, 0x1fe, v9
	;; [unrolled: 1-line block ×4, first 2 shown]
	v_mov_b32_e32 v10, 0
	s_mov_b32 s56, 0
	s_movk_i32 s57, 0x1000
	v_mov_b32_e32 v7, v5
	v_mov_b32_e32 v11, 0
	s_branch .LBB4_79
.LBB4_78:                               ;   in Loop: Header=BB4_79 Depth=3
	s_or_b64 exec, exec, s[46:47]
	s_add_i32 s56, s56, 4
	s_add_i32 s57, s57, 32
	v_add_co_u32_e32 v7, vcc, 32, v7
	s_cmpk_eq_i32 s56, 0x200
	v_addc_co_u32_e32 v8, vcc, 0, v8, vcc
	s_cbranch_scc1 .LBB4_74
.LBB4_79:                               ;   Parent Loop BB4_58 Depth=1
                                        ;     Parent Loop BB4_76 Depth=2
                                        ; =>    This Inner Loop Header: Depth=3
	v_cmp_ne_u32_e32 vcc, s56, v9
	s_add_i32 s58, s53, s56
	s_or_b64 s[46:47], s[38:39], vcc
	s_and_saveexec_b64 s[48:49], s[46:47]
	s_xor_b64 s[46:47], exec, s[48:49]
	s_cbranch_execz .LBB4_83
; %bb.80:                               ;   in Loop: Header=BB4_79 Depth=3
	s_cmp_lt_i32 s58, s25
	s_cselect_b64 s[48:49], -1, 0
	v_cmp_ge_i32_e32 vcc, s58, v13
	s_and_b64 s[60:61], s[48:49], vcc
	s_and_saveexec_b64 s[48:49], s[60:61]
	s_cbranch_execz .LBB4_82
; %bb.81:                               ;   in Loop: Header=BB4_79 Depth=3
	global_load_dwordx2 v[20:21], v[7:8], off offset:-16
	v_mov_b32_e32 v22, s57
	ds_read_b64 v[22:23], v22
	s_waitcnt vmcnt(0) lgkmcnt(0)
	v_mul_f32_e32 v24, v21, v23
	v_mul_f32_e32 v21, v21, v22
	v_fmac_f32_e32 v24, v20, v22
	v_fma_f32 v20, v20, v23, -v21
	v_add_f32_e32 v11, v11, v24
	v_add_f32_e32 v10, v10, v20
.LBB4_82:                               ;   in Loop: Header=BB4_79 Depth=3
	s_or_b64 exec, exec, s[48:49]
.LBB4_83:                               ;   in Loop: Header=BB4_79 Depth=3
	s_andn2_saveexec_b64 s[46:47], s[46:47]
	s_cbranch_execz .LBB4_85
; %bb.84:                               ;   in Loop: Header=BB4_79 Depth=3
	v_mov_b32_e32 v20, s57
	ds_read_b64 v[20:21], v20
	s_waitcnt lgkmcnt(0)
	v_add_f32_e32 v11, v11, v20
	v_add_f32_e32 v10, v10, v21
.LBB4_85:                               ;   in Loop: Header=BB4_79 Depth=3
	s_or_b64 exec, exec, s[46:47]
	v_cmp_ne_u32_e32 vcc, s56, v19
	s_or_b64 s[46:47], s[38:39], vcc
	s_and_saveexec_b64 s[48:49], s[46:47]
	s_xor_b64 s[46:47], exec, s[48:49]
	s_cbranch_execz .LBB4_89
; %bb.86:                               ;   in Loop: Header=BB4_79 Depth=3
	s_add_i32 s59, s58, 1
	s_cmp_lt_i32 s59, s25
	s_cselect_b64 s[48:49], -1, 0
	v_cmp_ge_i32_e32 vcc, s59, v13
	s_and_b64 s[60:61], s[48:49], vcc
	s_and_saveexec_b64 s[48:49], s[60:61]
	s_cbranch_execz .LBB4_88
; %bb.87:                               ;   in Loop: Header=BB4_79 Depth=3
	global_load_dwordx2 v[20:21], v[7:8], off offset:-8
	v_mov_b32_e32 v22, s57
	ds_read_b64 v[22:23], v22 offset:8
	s_waitcnt vmcnt(0) lgkmcnt(0)
	v_mul_f32_e32 v24, v21, v23
	v_mul_f32_e32 v21, v21, v22
	v_fmac_f32_e32 v24, v20, v22
	v_fma_f32 v20, v20, v23, -v21
	v_add_f32_e32 v11, v11, v24
	v_add_f32_e32 v10, v10, v20
.LBB4_88:                               ;   in Loop: Header=BB4_79 Depth=3
	s_or_b64 exec, exec, s[48:49]
.LBB4_89:                               ;   in Loop: Header=BB4_79 Depth=3
	s_andn2_saveexec_b64 s[46:47], s[46:47]
	s_cbranch_execz .LBB4_91
; %bb.90:                               ;   in Loop: Header=BB4_79 Depth=3
	v_mov_b32_e32 v20, s57
	ds_read_b64 v[20:21], v20 offset:8
	s_waitcnt lgkmcnt(0)
	v_add_f32_e32 v11, v11, v20
	v_add_f32_e32 v10, v10, v21
.LBB4_91:                               ;   in Loop: Header=BB4_79 Depth=3
	s_or_b64 exec, exec, s[46:47]
	v_cmp_ne_u32_e32 vcc, s56, v18
	s_or_b64 s[46:47], s[38:39], vcc
	s_and_saveexec_b64 s[48:49], s[46:47]
	s_xor_b64 s[46:47], exec, s[48:49]
	s_cbranch_execz .LBB4_95
; %bb.92:                               ;   in Loop: Header=BB4_79 Depth=3
	s_add_i32 s59, s58, 2
	s_cmp_lt_i32 s59, s25
	s_cselect_b64 s[48:49], -1, 0
	v_cmp_ge_i32_e32 vcc, s59, v13
	s_and_b64 s[60:61], s[48:49], vcc
	s_and_saveexec_b64 s[48:49], s[60:61]
	s_cbranch_execz .LBB4_94
; %bb.93:                               ;   in Loop: Header=BB4_79 Depth=3
	global_load_dwordx2 v[20:21], v[7:8], off
	v_mov_b32_e32 v22, s57
	ds_read_b64 v[22:23], v22 offset:16
	s_waitcnt vmcnt(0) lgkmcnt(0)
	v_mul_f32_e32 v24, v21, v23
	v_mul_f32_e32 v21, v21, v22
	v_fmac_f32_e32 v24, v20, v22
	v_fma_f32 v20, v20, v23, -v21
	v_add_f32_e32 v11, v11, v24
	v_add_f32_e32 v10, v10, v20
.LBB4_94:                               ;   in Loop: Header=BB4_79 Depth=3
	s_or_b64 exec, exec, s[48:49]
.LBB4_95:                               ;   in Loop: Header=BB4_79 Depth=3
	s_andn2_saveexec_b64 s[46:47], s[46:47]
	s_cbranch_execz .LBB4_97
; %bb.96:                               ;   in Loop: Header=BB4_79 Depth=3
	v_mov_b32_e32 v20, s57
	ds_read_b64 v[20:21], v20 offset:16
	s_waitcnt lgkmcnt(0)
	v_add_f32_e32 v11, v11, v20
	v_add_f32_e32 v10, v10, v21
.LBB4_97:                               ;   in Loop: Header=BB4_79 Depth=3
	s_or_b64 exec, exec, s[46:47]
	v_cmp_ne_u32_e32 vcc, s56, v14
	s_or_b64 s[46:47], s[38:39], vcc
	s_and_saveexec_b64 s[48:49], s[46:47]
	s_xor_b64 s[46:47], exec, s[48:49]
	s_cbranch_execz .LBB4_101
; %bb.98:                               ;   in Loop: Header=BB4_79 Depth=3
	s_add_i32 s58, s58, 3
	s_cmp_lt_i32 s58, s25
	s_cselect_b64 s[48:49], -1, 0
	v_cmp_ge_i32_e32 vcc, s58, v13
	s_and_b64 s[58:59], s[48:49], vcc
	s_and_saveexec_b64 s[48:49], s[58:59]
	s_cbranch_execz .LBB4_100
; %bb.99:                               ;   in Loop: Header=BB4_79 Depth=3
	global_load_dwordx2 v[20:21], v[7:8], off offset:8
	v_mov_b32_e32 v22, s57
	ds_read_b64 v[22:23], v22 offset:24
	s_waitcnt vmcnt(0) lgkmcnt(0)
	v_mul_f32_e32 v24, v21, v23
	v_mul_f32_e32 v21, v21, v22
	v_fmac_f32_e32 v24, v20, v22
	v_fma_f32 v20, v20, v23, -v21
	v_add_f32_e32 v11, v11, v24
	v_add_f32_e32 v10, v10, v20
.LBB4_100:                              ;   in Loop: Header=BB4_79 Depth=3
	s_or_b64 exec, exec, s[48:49]
.LBB4_101:                              ;   in Loop: Header=BB4_79 Depth=3
	s_andn2_saveexec_b64 s[46:47], s[46:47]
	s_cbranch_execz .LBB4_78
; %bb.102:                              ;   in Loop: Header=BB4_79 Depth=3
	v_mov_b32_e32 v20, s57
	ds_read_b64 v[20:21], v20 offset:24
	s_waitcnt lgkmcnt(0)
	v_add_f32_e32 v11, v11, v20
	v_add_f32_e32 v10, v10, v21
	s_branch .LBB4_78
.LBB4_103:                              ;   in Loop: Header=BB4_58 Depth=1
	s_or_b64 exec, exec, s[40:41]
.LBB4_104:                              ;   in Loop: Header=BB4_58 Depth=1
	s_and_saveexec_b64 s[40:41], s[0:1]
	s_cbranch_execz .LBB4_57
; %bb.105:                              ;   in Loop: Header=BB4_58 Depth=1
	v_mad_u64_u32 v[5:6], s[0:1], s20, v17, 0
	v_mov_b32_e32 v9, s33
	v_mad_u64_u32 v[6:7], s[0:1], s21, v17, v[6:7]
	ds_read_b64 v[7:8], v15
	v_lshlrev_b64 v[5:6], 3, v[5:6]
	v_add_co_u32_e32 v5, vcc, s24, v5
	v_addc_co_u32_e32 v6, vcc, v9, v6, vcc
	s_waitcnt lgkmcnt(0)
	global_store_dwordx2 v[5:6], v[7:8], off
	s_branch .LBB4_57
.LBB4_106:
	s_mov_b64 s[0:1], 0
.LBB4_107:
	s_andn2_b64 vcc, exec, s[0:1]
	s_cbranch_vccnz .LBB4_189
; %bb.108:
	s_mov_b64 s[0:1], -1
	s_and_b64 vcc, exec, s[36:37]
	s_cbranch_vccz .LBB4_149
; %bb.109:
	s_andn2_b64 vcc, exec, s[6:7]
	s_cbranch_vccnz .LBB4_148
; %bb.110:
	s_lshl_b64 s[16:17], s[12:13], 12
	s_lshl_b64 s[18:19], s[12:13], 3
	s_add_u32 s0, s28, s30
	s_addc_u32 s1, s29, s31
	s_add_u32 s2, s8, s0
	s_addc_u32 s3, s9, s1
	;; [unrolled: 2-line block ×5, first 2 shown]
	s_add_u32 s36, s0, -8
	s_addc_u32 s37, s1, -1
	s_lshl_b64 s[0:1], s[12:13], 4
	s_add_u32 s27, s0, -16
	v_lshlrev_b32_e32 v9, 3, v0
	v_or_b32_e32 v10, 0x200, v0
	s_addc_u32 s60, s1, -1
	s_mov_b32 s61, 0
	s_mov_b64 s[38:39], 0
	s_xor_b64 s[40:41], s[4:5], -1
	v_mov_b32_e32 v2, 0
	s_branch .LBB4_112
.LBB4_111:                              ;   in Loop: Header=BB4_112 Depth=1
	s_or_b64 exec, exec, s[42:43]
	s_add_u32 s34, s34, s16
	s_addc_u32 s35, s35, s17
	s_add_u32 s22, s22, s16
	s_addc_u32 s23, s23, s17
	s_add_u32 s38, s38, 0xfffffe00
	s_addc_u32 s39, s39, -1
	s_add_u32 s36, s36, s16
	v_add_u32_e32 v10, 0x200, v10
	s_addc_u32 s37, s37, s17
	s_and_b64 vcc, exec, s[2:3]
	s_mov_b32 s61, s62
	s_waitcnt vmcnt(0)
	s_barrier
	s_cbranch_vccnz .LBB4_148
.LBB4_112:                              ; =>This Loop Header: Depth=1
                                        ;     Child Loop BB4_116 Depth 2
                                        ;     Child Loop BB4_130 Depth 2
                                        ;       Child Loop BB4_133 Depth 3
	v_add_u32_e32 v11, s61, v0
	v_cmp_le_i32_e32 vcc, s25, v11
	v_cmp_gt_i32_e64 s[0:1], s25, v11
	s_and_saveexec_b64 s[42:43], s[0:1]
	s_cbranch_execz .LBB4_114
; %bb.113:                              ;   in Loop: Header=BB4_112 Depth=1
	v_mad_u64_u32 v[3:4], s[2:3], s20, v11, 0
	v_mov_b32_e32 v1, v4
	v_mad_u64_u32 v[4:5], s[2:3], s21, v11, v[1:2]
	v_mov_b32_e32 v1, s33
	v_lshlrev_b64 v[3:4], 3, v[3:4]
	v_add_co_u32_e64 v3, s[2:3], s24, v3
	v_addc_co_u32_e64 v4, s[2:3], v1, v4, s[2:3]
	global_load_dwordx2 v[3:4], v[3:4], off
	s_waitcnt vmcnt(0)
	ds_write_b64 v9, v[3:4]
.LBB4_114:                              ;   in Loop: Header=BB4_112 Depth=1
	s_or_b64 exec, exec, s[42:43]
	v_subrev_u32_e32 v12, s26, v11
	s_mov_b32 s50, 0
	s_xor_b64 s[42:43], vcc, -1
	s_mov_b64 s[44:45], s[22:23]
	s_mov_b64 s[46:47], s[34:35]
	v_mov_b32_e32 v1, v0
	s_mov_b32 s51, 0
	s_waitcnt lgkmcnt(0)
	s_barrier
	s_branch .LBB4_116
.LBB4_115:                              ;   in Loop: Header=BB4_116 Depth=2
                                        ; implicit-def: $sgpr51
                                        ; implicit-def: $sgpr50
                                        ; implicit-def: $sgpr46_sgpr47
                                        ; implicit-def: $sgpr44_sgpr45
	s_cbranch_execnz .LBB4_126
.LBB4_116:                              ;   Parent Loop BB4_112 Depth=1
                                        ; =>  This Inner Loop Header: Depth=2
	s_add_i32 s52, s61, s51
	s_cmp_ge_i32 s52, s25
	s_cbranch_scc1 .LBB4_115
; %bb.117:                              ;   in Loop: Header=BB4_116 Depth=2
	v_cmp_eq_u32_e32 vcc, s51, v0
	s_and_b64 s[48:49], s[40:41], vcc
	s_and_saveexec_b64 s[2:3], s[48:49]
	s_cbranch_execz .LBB4_123
; %bb.118:                              ;   in Loop: Header=BB4_116 Depth=2
	global_load_dwordx2 v[3:4], v2, s[44:45] offset:-4
	ds_read_b64 v[5:6], v9
	s_mov_b64 s[48:49], -1
                                        ; implicit-def: $vgpr7
	s_waitcnt vmcnt(0)
	v_cmp_ngt_f32_e64 s[54:55], |v3|, |v4|
	s_and_b64 vcc, exec, s[54:55]
	s_cbranch_vccz .LBB4_120
; %bb.119:                              ;   in Loop: Header=BB4_116 Depth=2
	v_div_scale_f32 v7, s[48:49], v4, v4, v3
	v_div_scale_f32 v8, vcc, v3, v4, v3
	v_rcp_f32_e32 v13, v7
	v_fma_f32 v14, -v7, v13, 1.0
	v_fmac_f32_e32 v13, v14, v13
	v_mul_f32_e32 v14, v8, v13
	v_fma_f32 v15, -v7, v14, v8
	v_fmac_f32_e32 v14, v15, v13
	v_fma_f32 v7, -v7, v14, v8
	v_div_fmas_f32 v7, v7, v13, v14
	v_div_fixup_f32 v7, v7, v4, v3
	v_fma_f32 v8, v3, v7, v4
	v_div_scale_f32 v13, s[48:49], v8, v8, 1.0
	v_div_scale_f32 v14, vcc, 1.0, v8, 1.0
	s_mov_b64 s[48:49], 0
	v_rcp_f32_e32 v15, v13
	v_fma_f32 v16, -v13, v15, 1.0
	v_fmac_f32_e32 v15, v16, v15
	v_mul_f32_e32 v16, v14, v15
	v_fma_f32 v17, -v13, v16, v14
	v_fmac_f32_e32 v16, v17, v15
	v_fma_f32 v13, -v13, v16, v14
	v_div_fmas_f32 v13, v13, v15, v16
	s_waitcnt lgkmcnt(0)
	v_fma_f32 v14, v7, v5, v6
	v_fma_f32 v15, v7, v6, -v5
	v_div_fixup_f32 v8, v13, v8, 1.0
	v_mul_f32_e32 v7, v8, v14
	v_mul_f32_e32 v8, v8, v15
.LBB4_120:                              ;   in Loop: Header=BB4_116 Depth=2
	s_andn2_b64 vcc, exec, s[48:49]
	s_cbranch_vccnz .LBB4_122
; %bb.121:                              ;   in Loop: Header=BB4_116 Depth=2
	v_div_scale_f32 v7, s[48:49], v3, v3, v4
	v_div_scale_f32 v8, vcc, v4, v3, v4
	v_rcp_f32_e32 v13, v7
	v_fma_f32 v14, -v7, v13, 1.0
	v_fmac_f32_e32 v13, v14, v13
	v_mul_f32_e32 v14, v8, v13
	v_fma_f32 v15, -v7, v14, v8
	v_fmac_f32_e32 v14, v15, v13
	v_fma_f32 v7, -v7, v14, v8
	v_div_fmas_f32 v7, v7, v13, v14
	v_div_fixup_f32 v7, v7, v3, v4
	v_fmac_f32_e32 v3, v4, v7
	v_div_scale_f32 v4, s[48:49], v3, v3, 1.0
	v_div_scale_f32 v8, vcc, 1.0, v3, 1.0
	v_rcp_f32_e32 v13, v4
	v_fma_f32 v14, -v4, v13, 1.0
	v_fmac_f32_e32 v13, v14, v13
	v_mul_f32_e32 v14, v8, v13
	v_fma_f32 v15, -v4, v14, v8
	v_fmac_f32_e32 v14, v15, v13
	v_fma_f32 v4, -v4, v14, v8
	v_div_fmas_f32 v4, v4, v13, v14
	s_waitcnt lgkmcnt(0)
	v_fma_f32 v8, v7, v6, v5
	v_fma_f32 v5, -v7, v5, v6
	v_div_fixup_f32 v3, v4, v3, 1.0
	v_mul_f32_e32 v7, v3, v8
	v_mul_f32_e32 v8, v3, v5
.LBB4_122:                              ;   in Loop: Header=BB4_116 Depth=2
	ds_write_b64 v9, v[7:8]
.LBB4_123:                              ;   in Loop: Header=BB4_116 Depth=2
	s_or_b64 exec, exec, s[2:3]
	v_cmp_lt_u32_e32 vcc, s51, v0
	v_cmp_ge_i32_e64 s[2:3], s52, v12
	s_and_b64 s[48:49], s[42:43], vcc
	s_and_b64 s[48:49], s[48:49], s[2:3]
	s_waitcnt lgkmcnt(0)
	s_barrier
	s_and_saveexec_b64 s[2:3], s[48:49]
	s_cbranch_execz .LBB4_125
; %bb.124:                              ;   in Loop: Header=BB4_116 Depth=2
	v_lshlrev_b64 v[3:4], 3, v[1:2]
	v_mov_b32_e32 v5, s47
	v_add_co_u32_e32 v3, vcc, s46, v3
	v_addc_co_u32_e32 v4, vcc, v5, v4, vcc
	global_load_dwordx2 v[3:4], v[3:4], off
	v_mov_b32_e32 v5, s50
	ds_read_b64 v[5:6], v5
	ds_read_b64 v[7:8], v9
	s_waitcnt vmcnt(0) lgkmcnt(1)
	v_mul_f32_e32 v13, v6, v4
	v_mul_f32_e32 v4, v5, v4
	v_fma_f32 v5, v5, v3, -v13
	v_fmac_f32_e32 v4, v6, v3
	s_waitcnt lgkmcnt(0)
	v_sub_f32_e32 v3, v7, v5
	v_sub_f32_e32 v4, v8, v4
	ds_write_b64 v9, v[3:4]
.LBB4_125:                              ;   in Loop: Header=BB4_116 Depth=2
	s_or_b64 exec, exec, s[2:3]
	s_add_i32 s51, s51, 1
	s_add_i32 s50, s50, 8
	s_add_u32 s46, s46, s18
	s_addc_u32 s47, s47, s19
	s_add_u32 s44, s44, s18
	s_addc_u32 s45, s45, s19
	s_cmpk_eq_i32 s51, 0x200
	v_add_u32_e32 v1, -1, v1
	s_cselect_b64 s[2:3], -1, 0
	s_and_b64 vcc, exec, s[2:3]
	s_cbranch_vccz .LBB4_116
.LBB4_126:                              ;   in Loop: Header=BB4_112 Depth=1
	s_add_i32 s62, s61, 0x200
	s_cmp_ge_i32 s62, s25
	s_cselect_b64 s[2:3], -1, 0
	s_and_b64 vcc, exec, s[2:3]
	s_waitcnt lgkmcnt(0)
	s_barrier
	s_cbranch_vccnz .LBB4_146
; %bb.127:                              ;   in Loop: Header=BB4_112 Depth=1
	v_ashrrev_i32_e32 v1, 31, v10
	v_mov_b32_e32 v4, s39
	v_add_co_u32_e32 v3, vcc, s38, v10
	v_addc_co_u32_e32 v4, vcc, v4, v1, vcc
	v_lshlrev_b64 v[3:4], 3, v[3:4]
	s_mov_b64 s[42:43], 0
	s_mov_b64 s[44:45], s[34:35]
	v_mov_b32_e32 v1, v0
	s_mov_b64 s[46:47], s[36:37]
	s_mov_b32 s63, s62
                                        ; implicit-def: $sgpr48_sgpr49
	s_branch .LBB4_130
.LBB4_128:                              ;   in Loop: Header=BB4_130 Depth=2
	v_mad_u64_u32 v[12:13], s[52:53], s20, v7, 0
	v_mov_b32_e32 v14, s33
	s_addk_i32 s63, 0x200
	v_mov_b32_e32 v8, v13
	v_mad_u64_u32 v[7:8], s[52:53], s21, v7, v[8:9]
	s_add_u32 s46, s46, 0x1000
	s_addc_u32 s47, s47, 0
	v_mov_b32_e32 v13, v7
	v_lshlrev_b64 v[7:8], 3, v[12:13]
	s_add_u32 s44, s44, 0x1000
	v_add_co_u32_e32 v7, vcc, s24, v7
	v_addc_co_u32_e32 v8, vcc, v14, v8, vcc
	global_load_dwordx2 v[12:13], v[7:8], off
	s_addc_u32 s45, s45, 0
	s_cmp_ge_i32 s63, s25
	s_cselect_b64 s[52:53], -1, 0
	s_andn2_b64 s[48:49], s[48:49], exec
	s_and_b64 s[52:53], s[52:53], exec
	s_or_b64 s[48:49], s[48:49], s[52:53]
	s_waitcnt vmcnt(0)
	v_sub_f32_e32 v12, v12, v6
	v_sub_f32_e32 v13, v13, v5
	global_store_dwordx2 v[7:8], v[12:13], off
.LBB4_129:                              ;   in Loop: Header=BB4_130 Depth=2
	s_or_b64 exec, exec, s[50:51]
	s_and_b64 s[50:51], exec, s[48:49]
	s_or_b64 s[42:43], s[50:51], s[42:43]
	s_andn2_b64 exec, exec, s[42:43]
	s_cbranch_execz .LBB4_145
.LBB4_130:                              ;   Parent Loop BB4_112 Depth=1
                                        ; =>  This Loop Header: Depth=2
                                        ;       Child Loop BB4_133 Depth 3
	v_add_u32_e32 v7, s63, v0
	v_cmp_gt_i32_e32 vcc, s25, v7
	s_or_b64 s[48:49], s[48:49], exec
	s_and_saveexec_b64 s[50:51], vcc
	s_cbranch_execz .LBB4_129
; %bb.131:                              ;   in Loop: Header=BB4_130 Depth=2
	v_subrev_u32_e32 v8, s26, v7
	v_add_u32_e32 v12, 0x1ff, v1
	v_add_u32_e32 v1, 0x200, v1
	v_mov_b32_e32 v5, 0
	s_mov_b32 s64, 0
	s_mov_b64 s[52:53], s[44:45]
	s_mov_b64 s[54:55], s[46:47]
	s_mov_b32 s65, 0
	v_mov_b32_e32 v6, 0
	s_branch .LBB4_133
.LBB4_132:                              ;   in Loop: Header=BB4_133 Depth=3
	s_or_b64 exec, exec, s[56:57]
	s_add_i32 s65, s65, 2
	s_add_u32 s54, s54, s27
	s_addc_u32 s55, s55, s60
	s_add_i32 s64, s64, 16
	s_add_u32 s52, s52, s27
	s_addc_u32 s53, s53, s60
	s_cmpk_eq_i32 s65, 0x200
	s_cbranch_scc1 .LBB4_128
.LBB4_133:                              ;   Parent Loop BB4_112 Depth=1
                                        ;     Parent Loop BB4_130 Depth=2
                                        ; =>    This Inner Loop Header: Depth=3
	v_cmp_ne_u32_e32 vcc, s65, v1
	s_add_i32 s66, s61, s65
	s_or_b64 s[56:57], s[40:41], vcc
	s_and_saveexec_b64 s[58:59], s[56:57]
	s_xor_b64 s[56:57], exec, s[58:59]
	s_cbranch_execz .LBB4_137
; %bb.134:                              ;   in Loop: Header=BB4_133 Depth=3
	s_cmp_lt_i32 s66, s25
	s_cselect_b64 s[58:59], -1, 0
	v_cmp_ge_i32_e32 vcc, s66, v8
	s_and_b64 s[68:69], s[58:59], vcc
	s_and_saveexec_b64 s[58:59], s[68:69]
	s_cbranch_execz .LBB4_136
; %bb.135:                              ;   in Loop: Header=BB4_133 Depth=3
	v_mov_b32_e32 v14, s53
	v_add_co_u32_e32 v13, vcc, s52, v3
	v_addc_co_u32_e32 v14, vcc, v14, v4, vcc
	global_load_dwordx2 v[13:14], v[13:14], off
	v_mov_b32_e32 v15, s64
	ds_read_b64 v[15:16], v15
	s_waitcnt vmcnt(0) lgkmcnt(0)
	v_mul_f32_e32 v17, v16, v14
	v_mul_f32_e32 v14, v15, v14
	v_fma_f32 v15, v15, v13, -v17
	v_fmac_f32_e32 v14, v16, v13
	v_add_f32_e32 v6, v6, v15
	v_add_f32_e32 v5, v5, v14
.LBB4_136:                              ;   in Loop: Header=BB4_133 Depth=3
	s_or_b64 exec, exec, s[58:59]
.LBB4_137:                              ;   in Loop: Header=BB4_133 Depth=3
	s_andn2_saveexec_b64 s[56:57], s[56:57]
	s_cbranch_execz .LBB4_139
; %bb.138:                              ;   in Loop: Header=BB4_133 Depth=3
	v_mov_b32_e32 v13, s64
	ds_read_b64 v[13:14], v13
	s_waitcnt lgkmcnt(0)
	v_add_f32_e32 v6, v6, v13
	v_add_f32_e32 v5, v5, v14
.LBB4_139:                              ;   in Loop: Header=BB4_133 Depth=3
	s_or_b64 exec, exec, s[56:57]
	v_cmp_ne_u32_e32 vcc, s65, v12
	s_or_b64 s[56:57], s[40:41], vcc
	s_and_saveexec_b64 s[58:59], s[56:57]
	s_xor_b64 s[56:57], exec, s[58:59]
	s_cbranch_execz .LBB4_143
; %bb.140:                              ;   in Loop: Header=BB4_133 Depth=3
	s_add_i32 s66, s66, 1
	s_cmp_lt_i32 s66, s25
	s_cselect_b64 s[58:59], -1, 0
	v_cmp_ge_i32_e32 vcc, s66, v8
	s_and_b64 s[66:67], s[58:59], vcc
	s_and_saveexec_b64 s[58:59], s[66:67]
	s_cbranch_execz .LBB4_142
; %bb.141:                              ;   in Loop: Header=BB4_133 Depth=3
	v_mov_b32_e32 v14, s55
	v_add_co_u32_e32 v13, vcc, s54, v3
	v_addc_co_u32_e32 v14, vcc, v14, v4, vcc
	global_load_dwordx2 v[13:14], v[13:14], off
	v_mov_b32_e32 v15, s64
	ds_read_b64 v[15:16], v15 offset:8
	s_waitcnt vmcnt(0) lgkmcnt(0)
	v_mul_f32_e32 v17, v16, v14
	v_mul_f32_e32 v14, v15, v14
	v_fma_f32 v15, v15, v13, -v17
	v_fmac_f32_e32 v14, v16, v13
	v_add_f32_e32 v6, v6, v15
	v_add_f32_e32 v5, v5, v14
.LBB4_142:                              ;   in Loop: Header=BB4_133 Depth=3
	s_or_b64 exec, exec, s[58:59]
.LBB4_143:                              ;   in Loop: Header=BB4_133 Depth=3
	s_andn2_saveexec_b64 s[56:57], s[56:57]
	s_cbranch_execz .LBB4_132
; %bb.144:                              ;   in Loop: Header=BB4_133 Depth=3
	v_mov_b32_e32 v13, s64
	ds_read_b64 v[13:14], v13 offset:8
	s_waitcnt lgkmcnt(0)
	v_add_f32_e32 v6, v6, v13
	v_add_f32_e32 v5, v5, v14
	s_branch .LBB4_132
.LBB4_145:                              ;   in Loop: Header=BB4_112 Depth=1
	s_or_b64 exec, exec, s[42:43]
.LBB4_146:                              ;   in Loop: Header=BB4_112 Depth=1
	s_and_saveexec_b64 s[42:43], s[0:1]
	s_cbranch_execz .LBB4_111
; %bb.147:                              ;   in Loop: Header=BB4_112 Depth=1
	v_mad_u64_u32 v[3:4], s[0:1], s20, v11, 0
	v_mov_b32_e32 v1, v4
	v_mad_u64_u32 v[4:5], s[0:1], s21, v11, v[1:2]
	ds_read_b64 v[5:6], v9
	v_mov_b32_e32 v1, s33
	v_lshlrev_b64 v[3:4], 3, v[3:4]
	v_add_co_u32_e32 v3, vcc, s24, v3
	v_addc_co_u32_e32 v4, vcc, v1, v4, vcc
	s_waitcnt lgkmcnt(0)
	global_store_dwordx2 v[3:4], v[5:6], off
	s_branch .LBB4_111
.LBB4_148:
	s_mov_b64 s[0:1], 0
.LBB4_149:
	s_andn2_b64 vcc, exec, s[0:1]
	s_cbranch_vccnz .LBB4_189
; %bb.150:
	s_andn2_b64 vcc, exec, s[6:7]
	s_cbranch_vccnz .LBB4_189
; %bb.151:
	s_add_i32 s22, s25, 0xfffffe00
	s_add_i32 s6, s25, -1
	s_add_u32 s2, s28, s30
	s_addc_u32 s3, s29, s31
	s_ashr_i32 s27, s26, 31
	s_lshl_b64 s[0:1], s[26:27], 3
	s_add_u32 s2, s2, s0
	s_addc_u32 s3, s3, s1
	s_ashr_i32 s7, s6, 31
	s_lshl_b64 s[0:1], s[6:7], 3
	s_sub_u32 s0, s2, s0
	s_subb_u32 s1, s3, s1
	s_add_u32 s7, s8, s0
	s_addc_u32 s38, s9, s1
	s_lshl_b64 s[16:17], s[12:13], 3
	s_or_b32 s0, s0, 4
	s_add_u32 s18, s8, s0
	s_addc_u32 s19, s9, s1
	s_add_u32 s39, s16, 8
	s_addc_u32 s40, s17, 0
	;; [unrolled: 2-line block ×4, first 2 shown]
	s_ashr_i32 s3, s25, 31
	s_mov_b32 s2, s25
	s_lshl_b64 s[0:1], s[0:1], 3
	s_lshl_b64 s[2:3], s[2:3], 3
	s_sub_u32 s0, s0, s2
	s_subb_u32 s1, s1, s3
	s_add_u32 s0, s8, s0
	s_addc_u32 s1, s9, s1
	s_add_u32 s8, s0, 0xff8
	s_addc_u32 s9, s1, 0
	s_add_i32 s27, s25, 0xfffffe01
	s_add_u32 s41, s0, 0x1000
	s_addc_u32 s42, s1, 0
	s_lshl_b64 s[0:1], s[12:13], 4
	v_mov_b32_e32 v1, 0x2000
	v_add_u32_e32 v2, s25, v0
	s_add_u32 s43, s0, -16
	v_lshl_or_b32 v14, v0, 3, v1
	v_add_u32_e32 v1, 0xfffffe00, v2
	v_add_u32_e32 v15, 0xfffffc00, v2
	s_addc_u32 s44, s1, -1
	v_mov_b32_e32 v3, 0
	s_xor_b64 s[4:5], s[4:5], -1
	s_branch .LBB4_153
.LBB4_152:                              ;   in Loop: Header=BB4_153 Depth=1
	s_or_b64 exec, exec, s[10:11]
	s_addk_i32 s6, 0xfe00
	s_add_u32 s7, s7, 0x1000
	s_addc_u32 s38, s38, 0
	s_add_u32 s18, s18, 0x1000
	s_addc_u32 s19, s19, 0
	s_addk_i32 s25, 0xfe00
	s_add_u32 s8, s8, 0x1000
	s_addc_u32 s9, s9, 0
	s_addk_i32 s27, 0xfe00
	s_add_u32 s41, s41, 0x1000
	v_add_u32_e32 v1, 0xfffffe00, v1
	v_add_u32_e32 v15, 0xfffffe00, v15
	s_addc_u32 s42, s42, 0
	s_and_b64 vcc, exec, s[2:3]
	s_mov_b32 s22, s45
	s_waitcnt vmcnt(0)
	s_barrier
	s_cbranch_vccnz .LBB4_189
.LBB4_153:                              ; =>This Loop Header: Depth=1
                                        ;     Child Loop BB4_158 Depth 2
                                        ;     Child Loop BB4_171 Depth 2
                                        ;       Child Loop BB4_174 Depth 3
	v_add_u32_e32 v16, s22, v0
	v_cmp_gt_i32_e32 vcc, 0, v16
	v_cmp_lt_i32_e64 s[0:1], -1, v16
	s_and_saveexec_b64 s[10:11], s[0:1]
	s_cbranch_execz .LBB4_155
; %bb.154:                              ;   in Loop: Header=BB4_153 Depth=1
	v_mad_u64_u32 v[4:5], s[2:3], s20, v16, 0
	v_mov_b32_e32 v2, v5
	v_mad_u64_u32 v[5:6], s[2:3], s21, v16, v[2:3]
	v_mov_b32_e32 v2, s33
	v_lshlrev_b64 v[4:5], 3, v[4:5]
	v_add_co_u32_e64 v4, s[2:3], s24, v4
	v_addc_co_u32_e64 v5, s[2:3], v2, v5, s[2:3]
	global_load_dwordx2 v[4:5], v[4:5], off
	s_waitcnt vmcnt(0)
	ds_write_b64 v14, v[4:5]
.LBB4_155:                              ;   in Loop: Header=BB4_153 Depth=1
	s_or_b64 exec, exec, s[10:11]
	v_mov_b32_e32 v2, v3
	v_lshlrev_b64 v[4:5], 3, v[1:2]
	v_mov_b32_e32 v2, s38
	v_add_co_u32_e64 v4, s[2:3], s7, v4
	v_mov_b32_e32 v6, s18
	v_addc_co_u32_e64 v5, s[2:3], v2, v5, s[2:3]
	v_add_u32_e32 v2, s26, v16
	s_movk_i32 s14, 0x1ff
	s_movk_i32 s15, 0x2ff8
	v_mov_b32_e32 v7, s19
	s_xor_b64 s[10:11], vcc, -1
	s_mov_b32 s23, s6
	s_waitcnt lgkmcnt(0)
	s_barrier
	s_branch .LBB4_158
.LBB4_156:                              ;   in Loop: Header=BB4_158 Depth=2
	s_or_b64 exec, exec, s[2:3]
	v_add_co_u32_e32 v4, vcc, 8, v4
	s_add_i32 s14, s14, -1
	s_add_i32 s15, s15, -8
	v_addc_co_u32_e32 v5, vcc, 0, v5, vcc
	s_add_i32 s23, s23, -1
	v_add_co_u32_e32 v6, vcc, 8, v6
	s_cmp_eq_u32 s14, -1
	v_addc_co_u32_e32 v7, vcc, 0, v7, vcc
	s_cselect_b64 s[2:3], -1, 0
.LBB4_157:                              ;   in Loop: Header=BB4_158 Depth=2
	s_and_b64 vcc, exec, s[2:3]
	s_cbranch_vccnz .LBB4_167
.LBB4_158:                              ;   Parent Loop BB4_153 Depth=1
                                        ; =>  This Inner Loop Header: Depth=2
	s_add_i32 s28, s6, s14
	s_addk_i32 s28, 0xfe01
	s_cmp_lt_i32 s28, 0
	s_mov_b64 s[2:3], -1
	s_cbranch_scc1 .LBB4_157
; %bb.159:                              ;   in Loop: Header=BB4_158 Depth=2
	v_cmp_eq_u32_e32 vcc, s14, v0
	s_and_b64 s[12:13], s[4:5], vcc
	s_and_saveexec_b64 s[2:3], s[12:13]
	s_cbranch_execz .LBB4_165
; %bb.160:                              ;   in Loop: Header=BB4_158 Depth=2
	s_mul_i32 s12, s40, s23
	s_mul_hi_u32 s13, s39, s23
	s_add_i32 s12, s13, s12
	s_mul_i32 s13, s39, s23
	v_mov_b32_e32 v9, s12
	v_add_co_u32_e32 v8, vcc, s13, v6
	v_addc_co_u32_e32 v9, vcc, v7, v9, vcc
	global_load_dwordx2 v[8:9], v[8:9], off offset:-4
	ds_read_b64 v[10:11], v14
	s_mov_b64 s[12:13], -1
                                        ; implicit-def: $vgpr12
	s_waitcnt vmcnt(0)
	v_cmp_ngt_f32_e64 s[30:31], |v8|, |v9|
	s_and_b64 vcc, exec, s[30:31]
	s_cbranch_vccz .LBB4_162
; %bb.161:                              ;   in Loop: Header=BB4_158 Depth=2
	v_div_scale_f32 v12, s[12:13], v9, v9, v8
	v_div_scale_f32 v13, vcc, v8, v9, v8
	v_rcp_f32_e32 v17, v12
	v_fma_f32 v18, -v12, v17, 1.0
	v_fmac_f32_e32 v17, v18, v17
	v_mul_f32_e32 v18, v13, v17
	v_fma_f32 v19, -v12, v18, v13
	v_fmac_f32_e32 v18, v19, v17
	v_fma_f32 v12, -v12, v18, v13
	v_div_fmas_f32 v12, v12, v17, v18
	v_div_fixup_f32 v12, v12, v9, v8
	v_fma_f32 v13, v8, v12, v9
	v_div_scale_f32 v17, s[12:13], v13, v13, 1.0
	v_div_scale_f32 v18, vcc, 1.0, v13, 1.0
	s_mov_b64 s[12:13], 0
	v_rcp_f32_e32 v19, v17
	v_fma_f32 v20, -v17, v19, 1.0
	v_fmac_f32_e32 v19, v20, v19
	v_mul_f32_e32 v20, v18, v19
	v_fma_f32 v21, -v17, v20, v18
	v_fmac_f32_e32 v20, v21, v19
	v_fma_f32 v17, -v17, v20, v18
	v_div_fmas_f32 v17, v17, v19, v20
	s_waitcnt lgkmcnt(0)
	v_fma_f32 v18, v12, v10, v11
	v_fma_f32 v19, v12, v11, -v10
	v_div_fixup_f32 v13, v17, v13, 1.0
	v_mul_f32_e32 v12, v13, v18
	v_mul_f32_e32 v13, v13, v19
.LBB4_162:                              ;   in Loop: Header=BB4_158 Depth=2
	s_andn2_b64 vcc, exec, s[12:13]
	s_cbranch_vccnz .LBB4_164
; %bb.163:                              ;   in Loop: Header=BB4_158 Depth=2
	v_div_scale_f32 v12, s[12:13], v8, v8, v9
	v_div_scale_f32 v13, vcc, v9, v8, v9
	v_rcp_f32_e32 v17, v12
	v_fma_f32 v18, -v12, v17, 1.0
	v_fmac_f32_e32 v17, v18, v17
	v_mul_f32_e32 v18, v13, v17
	v_fma_f32 v19, -v12, v18, v13
	v_fmac_f32_e32 v18, v19, v17
	v_fma_f32 v12, -v12, v18, v13
	v_div_fmas_f32 v12, v12, v17, v18
	v_div_fixup_f32 v12, v12, v8, v9
	v_fmac_f32_e32 v8, v9, v12
	v_div_scale_f32 v9, s[12:13], v8, v8, 1.0
	v_div_scale_f32 v13, vcc, 1.0, v8, 1.0
	v_rcp_f32_e32 v17, v9
	v_fma_f32 v18, -v9, v17, 1.0
	v_fmac_f32_e32 v17, v18, v17
	v_mul_f32_e32 v18, v13, v17
	v_fma_f32 v19, -v9, v18, v13
	v_fmac_f32_e32 v18, v19, v17
	v_fma_f32 v9, -v9, v18, v13
	v_div_fmas_f32 v9, v9, v17, v18
	s_waitcnt lgkmcnt(0)
	v_fma_f32 v13, v12, v11, v10
	v_fma_f32 v10, -v12, v10, v11
	v_div_fixup_f32 v8, v9, v8, 1.0
	v_mul_f32_e32 v12, v8, v13
	v_mul_f32_e32 v13, v8, v10
.LBB4_164:                              ;   in Loop: Header=BB4_158 Depth=2
	ds_write_b64 v14, v[12:13]
.LBB4_165:                              ;   in Loop: Header=BB4_158 Depth=2
	s_or_b64 exec, exec, s[2:3]
	v_cmp_gt_u32_e32 vcc, s14, v0
	v_cmp_le_i32_e64 s[2:3], s28, v2
	s_and_b64 s[12:13], s[10:11], vcc
	s_and_b64 s[12:13], s[12:13], s[2:3]
	s_waitcnt lgkmcnt(0)
	s_barrier
	s_and_saveexec_b64 s[2:3], s[12:13]
	s_cbranch_execz .LBB4_156
; %bb.166:                              ;   in Loop: Header=BB4_158 Depth=2
	v_mov_b32_e32 v8, s23
	v_mad_u64_u32 v[8:9], s[12:13], s16, v8, v[4:5]
	s_mul_i32 s12, s17, s23
	v_mov_b32_e32 v10, s15
	v_add_u32_e32 v9, s12, v9
	global_load_dwordx2 v[8:9], v[8:9], off
	ds_read_b64 v[10:11], v10
	ds_read_b64 v[12:13], v14
	s_waitcnt vmcnt(0) lgkmcnt(1)
	v_mul_f32_e32 v17, v11, v9
	v_mul_f32_e32 v9, v10, v9
	v_fma_f32 v10, v10, v8, -v17
	v_fmac_f32_e32 v9, v11, v8
	s_waitcnt lgkmcnt(0)
	v_sub_f32_e32 v8, v12, v10
	v_sub_f32_e32 v9, v13, v9
	ds_write_b64 v14, v[8:9]
	s_branch .LBB4_156
.LBB4_167:                              ;   in Loop: Header=BB4_153 Depth=1
	s_add_i32 s45, s22, 0xfffffe00
	s_cmp_lt_i32 s22, 1
	s_cselect_b64 s[2:3], -1, 0
	s_and_b64 vcc, exec, s[2:3]
	s_waitcnt lgkmcnt(0)
	s_barrier
	s_cbranch_vccnz .LBB4_187
; %bb.168:                              ;   in Loop: Header=BB4_153 Depth=1
	s_mul_i32 s10, s17, s22
	s_mul_hi_u32 s11, s16, s22
	s_add_i32 s11, s11, s10
	s_mul_i32 s10, s16, s22
	s_add_u32 s10, s41, s10
	s_addc_u32 s11, s42, s11
	s_mov_b64 s[12:13], 0
	v_mov_b32_e32 v2, v15
	v_mov_b32_e32 v6, v0
	s_mov_b32 s46, s45
                                        ; implicit-def: $sgpr14_sgpr15
	s_branch .LBB4_171
.LBB4_169:                              ;   in Loop: Header=BB4_171 Depth=2
	v_mad_u64_u32 v[4:5], s[28:29], s20, v8, 0
	s_add_i32 s30, s46, 0xfffffe00
	s_cmp_lt_i32 s46, 1
	v_mad_u64_u32 v[10:11], s[28:29], s21, v8, v[5:6]
	v_mov_b32_e32 v8, s33
	s_cselect_b64 s[28:29], -1, 0
	v_mov_b32_e32 v5, v10
	v_lshlrev_b64 v[4:5], 3, v[4:5]
	s_andn2_b64 s[14:15], s[14:15], exec
	v_add_co_u32_e32 v4, vcc, s24, v4
	v_addc_co_u32_e32 v5, vcc, v8, v5, vcc
	global_load_dwordx2 v[10:11], v[4:5], off
	s_and_b64 s[28:29], s[28:29], exec
	v_add_u32_e32 v2, 0xfffffe00, v2
	s_or_b64 s[14:15], s[14:15], s[28:29]
	s_mov_b32 s46, s30
	s_waitcnt vmcnt(0)
	v_sub_f32_e32 v8, v10, v9
	v_sub_f32_e32 v9, v11, v7
	global_store_dwordx2 v[4:5], v[8:9], off
.LBB4_170:                              ;   in Loop: Header=BB4_171 Depth=2
	s_or_b64 exec, exec, s[22:23]
	s_and_b64 s[22:23], exec, s[14:15]
	s_or_b64 s[12:13], s[22:23], s[12:13]
	s_andn2_b64 exec, exec, s[12:13]
	s_cbranch_execz .LBB4_186
.LBB4_171:                              ;   Parent Loop BB4_153 Depth=1
                                        ; =>  This Loop Header: Depth=2
                                        ;       Child Loop BB4_174 Depth 3
	v_add_u32_e32 v8, s46, v0
	v_cmp_lt_i32_e32 vcc, -1, v8
	s_or_b64 s[14:15], s[14:15], exec
	s_and_saveexec_b64 s[22:23], vcc
	s_cbranch_execz .LBB4_170
; %bb.172:                              ;   in Loop: Header=BB4_171 Depth=2
	v_lshlrev_b64 v[4:5], 3, v[2:3]
	v_add_u32_e32 v10, s26, v8
	v_add_u32_e32 v11, 0xfffffdff, v6
	;; [unrolled: 1-line block ×3, first 2 shown]
	v_mov_b32_e32 v7, 0
	s_mov_b32 s47, 0
	s_movk_i32 s48, 0x2000
	s_mov_b64 s[28:29], s[10:11]
	s_mov_b32 s49, s27
	s_mov_b64 s[30:31], s[8:9]
	v_mov_b32_e32 v9, 0
	s_branch .LBB4_174
.LBB4_173:                              ;   in Loop: Header=BB4_174 Depth=3
	s_or_b64 exec, exec, s[34:35]
	s_add_i32 s47, s47, 2
	s_add_i32 s48, s48, 16
	s_add_u32 s30, s30, -16
	s_addc_u32 s31, s31, -1
	s_add_i32 s49, s49, 2
	s_add_u32 s28, s28, s43
	s_addc_u32 s29, s29, s44
	s_cmpk_eq_i32 s47, 0x200
	s_cbranch_scc1 .LBB4_169
.LBB4_174:                              ;   Parent Loop BB4_153 Depth=1
                                        ;     Parent Loop BB4_171 Depth=2
                                        ; =>    This Inner Loop Header: Depth=3
	v_cmp_ne_u32_e32 vcc, s47, v6
	s_add_i32 s50, s25, s47
	s_or_b64 s[34:35], s[4:5], vcc
	s_and_saveexec_b64 s[36:37], s[34:35]
	s_xor_b64 s[34:35], exec, s[36:37]
	s_cbranch_execz .LBB4_178
; %bb.175:                              ;   in Loop: Header=BB4_174 Depth=3
	s_add_i32 s36, s50, 0xfffffe00
	v_cmp_le_i32_e32 vcc, s36, v10
	s_and_saveexec_b64 s[36:37], vcc
	s_cbranch_execz .LBB4_177
; %bb.176:                              ;   in Loop: Header=BB4_174 Depth=3
	v_mov_b32_e32 v13, s29
	v_add_co_u32_e32 v12, vcc, s28, v4
	v_addc_co_u32_e32 v13, vcc, v13, v5, vcc
	global_load_dwordx2 v[12:13], v[12:13], off
	v_mov_b32_e32 v17, s48
	ds_read_b64 v[17:18], v17
	s_waitcnt vmcnt(0) lgkmcnt(0)
	v_mul_f32_e32 v19, v18, v13
	v_mul_f32_e32 v13, v17, v13
	v_fma_f32 v17, v17, v12, -v19
	v_fmac_f32_e32 v13, v18, v12
	v_add_f32_e32 v9, v9, v17
	v_add_f32_e32 v7, v7, v13
.LBB4_177:                              ;   in Loop: Header=BB4_174 Depth=3
	s_or_b64 exec, exec, s[36:37]
.LBB4_178:                              ;   in Loop: Header=BB4_174 Depth=3
	s_andn2_saveexec_b64 s[34:35], s[34:35]
	s_cbranch_execz .LBB4_180
; %bb.179:                              ;   in Loop: Header=BB4_174 Depth=3
	v_mov_b32_e32 v12, s48
	ds_read_b64 v[12:13], v12
	s_waitcnt lgkmcnt(0)
	v_add_f32_e32 v9, v9, v12
	v_add_f32_e32 v7, v7, v13
.LBB4_180:                              ;   in Loop: Header=BB4_174 Depth=3
	s_or_b64 exec, exec, s[34:35]
	v_cmp_ne_u32_e32 vcc, s47, v11
	s_or_b64 s[34:35], s[4:5], vcc
	s_and_saveexec_b64 s[36:37], s[34:35]
	s_xor_b64 s[34:35], exec, s[36:37]
	s_cbranch_execz .LBB4_184
; %bb.181:                              ;   in Loop: Header=BB4_174 Depth=3
	s_addk_i32 s50, 0xfe01
	v_cmp_le_i32_e32 vcc, s50, v10
	s_and_saveexec_b64 s[36:37], vcc
	s_cbranch_execz .LBB4_183
; %bb.182:                              ;   in Loop: Header=BB4_174 Depth=3
	s_mul_i32 s50, s17, s49
	s_mul_hi_u32 s51, s16, s49
	s_add_i32 s51, s51, s50
	s_mul_i32 s50, s16, s49
	s_add_u32 s50, s30, s50
	s_addc_u32 s51, s31, s51
	v_mov_b32_e32 v13, s51
	v_add_co_u32_e32 v12, vcc, s50, v4
	v_addc_co_u32_e32 v13, vcc, v13, v5, vcc
	global_load_dwordx2 v[12:13], v[12:13], off
	v_mov_b32_e32 v17, s48
	ds_read_b64 v[17:18], v17 offset:8
	s_waitcnt vmcnt(0) lgkmcnt(0)
	v_mul_f32_e32 v19, v18, v13
	v_mul_f32_e32 v13, v17, v13
	v_fma_f32 v17, v17, v12, -v19
	v_fmac_f32_e32 v13, v18, v12
	v_add_f32_e32 v9, v9, v17
	v_add_f32_e32 v7, v7, v13
.LBB4_183:                              ;   in Loop: Header=BB4_174 Depth=3
	s_or_b64 exec, exec, s[36:37]
.LBB4_184:                              ;   in Loop: Header=BB4_174 Depth=3
	s_andn2_saveexec_b64 s[34:35], s[34:35]
	s_cbranch_execz .LBB4_173
; %bb.185:                              ;   in Loop: Header=BB4_174 Depth=3
	v_mov_b32_e32 v12, s48
	ds_read_b64 v[12:13], v12 offset:8
	s_waitcnt lgkmcnt(0)
	v_add_f32_e32 v9, v9, v12
	v_add_f32_e32 v7, v7, v13
	s_branch .LBB4_173
.LBB4_186:                              ;   in Loop: Header=BB4_153 Depth=1
	s_or_b64 exec, exec, s[12:13]
.LBB4_187:                              ;   in Loop: Header=BB4_153 Depth=1
	s_and_saveexec_b64 s[10:11], s[0:1]
	s_cbranch_execz .LBB4_152
; %bb.188:                              ;   in Loop: Header=BB4_153 Depth=1
	v_mad_u64_u32 v[4:5], s[0:1], s20, v16, 0
	v_mov_b32_e32 v2, v5
	v_mad_u64_u32 v[5:6], s[0:1], s21, v16, v[2:3]
	ds_read_b64 v[6:7], v14
	v_mov_b32_e32 v2, s33
	v_lshlrev_b64 v[4:5], 3, v[4:5]
	v_add_co_u32_e32 v4, vcc, s24, v4
	v_addc_co_u32_e32 v5, vcc, v2, v5, vcc
	s_waitcnt lgkmcnt(0)
	global_store_dwordx2 v[4:5], v[6:7], off
	s_branch .LBB4_152
.LBB4_189:
	s_endpgm
	.section	.rodata,"a",@progbits
	.p2align	6, 0x0
	.amdhsa_kernel _ZL19rocblas_tbsv_kernelILb1ELi512EPK19rocblas_complex_numIfEPS1_Ev18rocblas_operation_bbiiT1_lllT2_lll
		.amdhsa_group_segment_fixed_size 16384
		.amdhsa_private_segment_fixed_size 0
		.amdhsa_kernarg_size 80
		.amdhsa_user_sgpr_count 6
		.amdhsa_user_sgpr_private_segment_buffer 1
		.amdhsa_user_sgpr_dispatch_ptr 0
		.amdhsa_user_sgpr_queue_ptr 0
		.amdhsa_user_sgpr_kernarg_segment_ptr 1
		.amdhsa_user_sgpr_dispatch_id 0
		.amdhsa_user_sgpr_flat_scratch_init 0
		.amdhsa_user_sgpr_private_segment_size 0
		.amdhsa_uses_dynamic_stack 0
		.amdhsa_system_sgpr_private_segment_wavefront_offset 0
		.amdhsa_system_sgpr_workgroup_id_x 1
		.amdhsa_system_sgpr_workgroup_id_y 0
		.amdhsa_system_sgpr_workgroup_id_z 0
		.amdhsa_system_sgpr_workgroup_info 0
		.amdhsa_system_vgpr_workitem_id 0
		.amdhsa_next_free_vgpr 29
		.amdhsa_next_free_sgpr 70
		.amdhsa_reserve_vcc 1
		.amdhsa_reserve_flat_scratch 0
		.amdhsa_float_round_mode_32 0
		.amdhsa_float_round_mode_16_64 0
		.amdhsa_float_denorm_mode_32 3
		.amdhsa_float_denorm_mode_16_64 3
		.amdhsa_dx10_clamp 1
		.amdhsa_ieee_mode 1
		.amdhsa_fp16_overflow 0
		.amdhsa_exception_fp_ieee_invalid_op 0
		.amdhsa_exception_fp_denorm_src 0
		.amdhsa_exception_fp_ieee_div_zero 0
		.amdhsa_exception_fp_ieee_overflow 0
		.amdhsa_exception_fp_ieee_underflow 0
		.amdhsa_exception_fp_ieee_inexact 0
		.amdhsa_exception_int_div_zero 0
	.end_amdhsa_kernel
	.section	.text._ZL19rocblas_tbsv_kernelILb1ELi512EPK19rocblas_complex_numIfEPS1_Ev18rocblas_operation_bbiiT1_lllT2_lll,"axG",@progbits,_ZL19rocblas_tbsv_kernelILb1ELi512EPK19rocblas_complex_numIfEPS1_Ev18rocblas_operation_bbiiT1_lllT2_lll,comdat
.Lfunc_end4:
	.size	_ZL19rocblas_tbsv_kernelILb1ELi512EPK19rocblas_complex_numIfEPS1_Ev18rocblas_operation_bbiiT1_lllT2_lll, .Lfunc_end4-_ZL19rocblas_tbsv_kernelILb1ELi512EPK19rocblas_complex_numIfEPS1_Ev18rocblas_operation_bbiiT1_lllT2_lll
                                        ; -- End function
	.set _ZL19rocblas_tbsv_kernelILb1ELi512EPK19rocblas_complex_numIfEPS1_Ev18rocblas_operation_bbiiT1_lllT2_lll.num_vgpr, 25
	.set _ZL19rocblas_tbsv_kernelILb1ELi512EPK19rocblas_complex_numIfEPS1_Ev18rocblas_operation_bbiiT1_lllT2_lll.num_agpr, 0
	.set _ZL19rocblas_tbsv_kernelILb1ELi512EPK19rocblas_complex_numIfEPS1_Ev18rocblas_operation_bbiiT1_lllT2_lll.numbered_sgpr, 70
	.set _ZL19rocblas_tbsv_kernelILb1ELi512EPK19rocblas_complex_numIfEPS1_Ev18rocblas_operation_bbiiT1_lllT2_lll.num_named_barrier, 0
	.set _ZL19rocblas_tbsv_kernelILb1ELi512EPK19rocblas_complex_numIfEPS1_Ev18rocblas_operation_bbiiT1_lllT2_lll.private_seg_size, 0
	.set _ZL19rocblas_tbsv_kernelILb1ELi512EPK19rocblas_complex_numIfEPS1_Ev18rocblas_operation_bbiiT1_lllT2_lll.uses_vcc, 1
	.set _ZL19rocblas_tbsv_kernelILb1ELi512EPK19rocblas_complex_numIfEPS1_Ev18rocblas_operation_bbiiT1_lllT2_lll.uses_flat_scratch, 0
	.set _ZL19rocblas_tbsv_kernelILb1ELi512EPK19rocblas_complex_numIfEPS1_Ev18rocblas_operation_bbiiT1_lllT2_lll.has_dyn_sized_stack, 0
	.set _ZL19rocblas_tbsv_kernelILb1ELi512EPK19rocblas_complex_numIfEPS1_Ev18rocblas_operation_bbiiT1_lllT2_lll.has_recursion, 0
	.set _ZL19rocblas_tbsv_kernelILb1ELi512EPK19rocblas_complex_numIfEPS1_Ev18rocblas_operation_bbiiT1_lllT2_lll.has_indirect_call, 0
	.section	.AMDGPU.csdata,"",@progbits
; Kernel info:
; codeLenInByte = 7628
; TotalNumSgprs: 74
; NumVgprs: 25
; ScratchSize: 0
; MemoryBound: 0
; FloatMode: 240
; IeeeMode: 1
; LDSByteSize: 16384 bytes/workgroup (compile time only)
; SGPRBlocks: 9
; VGPRBlocks: 7
; NumSGPRsForWavesPerEU: 74
; NumVGPRsForWavesPerEU: 29
; Occupancy: 8
; WaveLimiterHint : 0
; COMPUTE_PGM_RSRC2:SCRATCH_EN: 0
; COMPUTE_PGM_RSRC2:USER_SGPR: 6
; COMPUTE_PGM_RSRC2:TRAP_HANDLER: 0
; COMPUTE_PGM_RSRC2:TGID_X_EN: 1
; COMPUTE_PGM_RSRC2:TGID_Y_EN: 0
; COMPUTE_PGM_RSRC2:TGID_Z_EN: 0
; COMPUTE_PGM_RSRC2:TIDIG_COMP_CNT: 0
	.section	.text._ZL19rocblas_tbsv_kernelILb0ELi512EPK19rocblas_complex_numIfEPS1_Ev18rocblas_operation_bbiiT1_lllT2_lll,"axG",@progbits,_ZL19rocblas_tbsv_kernelILb0ELi512EPK19rocblas_complex_numIfEPS1_Ev18rocblas_operation_bbiiT1_lllT2_lll,comdat
	.globl	_ZL19rocblas_tbsv_kernelILb0ELi512EPK19rocblas_complex_numIfEPS1_Ev18rocblas_operation_bbiiT1_lllT2_lll ; -- Begin function _ZL19rocblas_tbsv_kernelILb0ELi512EPK19rocblas_complex_numIfEPS1_Ev18rocblas_operation_bbiiT1_lllT2_lll
	.p2align	8
	.type	_ZL19rocblas_tbsv_kernelILb0ELi512EPK19rocblas_complex_numIfEPS1_Ev18rocblas_operation_bbiiT1_lllT2_lll,@function
_ZL19rocblas_tbsv_kernelILb0ELi512EPK19rocblas_complex_numIfEPS1_Ev18rocblas_operation_bbiiT1_lllT2_lll: ; @_ZL19rocblas_tbsv_kernelILb0ELi512EPK19rocblas_complex_numIfEPS1_Ev18rocblas_operation_bbiiT1_lllT2_lll
; %bb.0:
	s_load_dwordx2 s[0:1], s[4:5], 0x0
	s_load_dwordx4 s[24:27], s[4:5], 0x4
	s_load_dwordx16 s[8:23], s[4:5], 0x10
	s_waitcnt lgkmcnt(0)
	s_bitcmp1_b32 s1, 0
	s_cselect_b64 s[2:3], -1, 0
	s_xor_b64 s[36:37], s[2:3], -1
	s_bitcmp1_b32 s24, 8
	s_mul_i32 s1, s15, s6
	s_mul_hi_u32 s2, s14, s6
	s_cselect_b64 s[4:5], -1, 0
	s_add_i32 s15, s2, s1
	s_mul_i32 s14, s14, s6
	s_lshl_b64 s[28:29], s[14:15], 3
	s_add_u32 s1, s8, s28
	s_addc_u32 s2, s9, s29
	s_lshl_b64 s[30:31], s[10:11], 3
	s_add_u32 s34, s1, s30
	s_addc_u32 s35, s2, s31
	s_mul_i32 s1, s23, s6
	s_mul_hi_u32 s2, s22, s6
	s_add_i32 s3, s2, s1
	s_mul_i32 s2, s22, s6
	s_lshl_b64 s[2:3], s[2:3], 3
	s_add_u32 s1, s16, s2
	s_addc_u32 s6, s17, s3
	s_lshl_b64 s[2:3], s[18:19], 3
	s_add_u32 s24, s1, s2
	s_addc_u32 s33, s6, s3
	s_cmp_gt_i32 s25, 0
	s_cselect_b64 s[6:7], -1, 0
	s_cmpk_lg_i32 s0, 0x6f
	s_mov_b64 s[0:1], -1
	s_cbranch_scc0 .LBB5_83
; %bb.1:
	s_and_b64 vcc, exec, s[36:37]
	s_cbranch_vccz .LBB5_42
; %bb.2:
	s_andn2_b64 vcc, exec, s[6:7]
	s_cbranch_vccnz .LBB5_41
; %bb.3:
	s_add_i32 s42, s25, 0xfffffe00
	s_add_i32 s27, s25, -1
	s_add_u32 s2, s28, s30
	s_addc_u32 s3, s29, s31
	s_ashr_i32 s1, s25, 31
	s_mov_b32 s0, s25
	s_lshl_b64 s[0:1], s[0:1], 3
	s_add_u32 s0, s2, s0
	s_addc_u32 s1, s3, s1
	s_add_u32 s0, s8, s0
	v_mov_b32_e32 v1, 0x3000
	s_addc_u32 s1, s9, s1
	v_lshl_or_b32 v9, v0, 3, v1
	s_add_u32 s16, s0, 0xfffff000
	v_add_u32_e32 v1, s25, v0
	v_sub_u32_e32 v10, 0, v0
	s_addc_u32 s17, s1, -1
	v_add_u32_e32 v11, 0xfffffc00, v1
	s_lshl_b64 s[18:19], s[12:13], 3
	v_mov_b32_e32 v12, s35
	s_xor_b64 s[22:23], s[4:5], -1
	v_mov_b32_e32 v2, 0
	s_mov_b32 s48, s25
	s_branch .LBB5_5
.LBB5_4:                                ;   in Loop: Header=BB5_5 Depth=1
	s_or_b64 exec, exec, s[38:39]
	s_addk_i32 s27, 0xfe00
	s_addk_i32 s48, 0xfe00
	s_add_u32 s16, s16, 0xfffff000
	s_addc_u32 s17, s17, -1
	v_add_u32_e32 v11, 0xfffffe00, v11
	s_andn2_b64 vcc, exec, s[2:3]
	s_mov_b32 s42, s49
	s_waitcnt vmcnt(0)
	s_barrier
	s_cbranch_vccz .LBB5_41
.LBB5_5:                                ; =>This Loop Header: Depth=1
                                        ;     Child Loop BB5_10 Depth 2
                                        ;     Child Loop BB5_23 Depth 2
                                        ;       Child Loop BB5_26 Depth 3
	v_add_u32_e32 v13, s42, v0
	v_cmp_gt_i32_e32 vcc, 0, v13
	v_cmp_lt_i32_e64 s[0:1], -1, v13
	s_and_saveexec_b64 s[38:39], s[0:1]
	s_cbranch_execz .LBB5_7
; %bb.6:                                ;   in Loop: Header=BB5_5 Depth=1
	v_mad_u64_u32 v[3:4], s[2:3], s20, v13, 0
	v_mov_b32_e32 v1, v4
	v_mad_u64_u32 v[4:5], s[2:3], s21, v13, v[1:2]
	v_mov_b32_e32 v1, s33
	v_lshlrev_b64 v[3:4], 3, v[3:4]
	v_add_co_u32_e64 v3, s[2:3], s24, v3
	v_addc_co_u32_e64 v4, s[2:3], v1, v4, s[2:3]
	global_load_dwordx2 v[3:4], v[3:4], off
	s_waitcnt vmcnt(0)
	ds_write_b64 v9, v[3:4]
.LBB5_7:                                ;   in Loop: Header=BB5_5 Depth=1
	s_or_b64 exec, exec, s[38:39]
	v_ashrrev_i32_e32 v1, 31, v13
	v_mul_lo_u32 v5, s13, v13
	v_mul_lo_u32 v1, s12, v1
	v_mad_u64_u32 v[3:4], s[2:3], s12, v13, 0
	v_add_u32_e32 v14, s26, v13
	s_movk_i32 s43, 0x1ff
	v_add3_u32 v4, v4, v1, v5
	v_lshlrev_b64 v[3:4], 3, v[3:4]
	s_movk_i32 s44, 0x3ff8
	v_add_co_u32_e64 v15, s[2:3], s34, v3
	v_addc_co_u32_e64 v16, s[2:3], v12, v4, s[2:3]
	s_xor_b64 s[38:39], vcc, -1
	s_waitcnt lgkmcnt(0)
	s_barrier
	s_branch .LBB5_10
.LBB5_8:                                ;   in Loop: Header=BB5_10 Depth=2
	s_or_b64 exec, exec, s[2:3]
	s_add_i32 s43, s43, -1
	s_add_i32 s44, s44, -8
	s_cmp_eq_u32 s43, -1
	s_cselect_b64 s[2:3], -1, 0
.LBB5_9:                                ;   in Loop: Header=BB5_10 Depth=2
	s_and_b64 vcc, exec, s[2:3]
	s_cbranch_vccnz .LBB5_19
.LBB5_10:                               ;   Parent Loop BB5_5 Depth=1
                                        ; =>  This Inner Loop Header: Depth=2
	s_add_i32 s45, s27, s43
	s_addk_i32 s45, 0xfe01
	s_cmp_lt_i32 s45, 0
	s_mov_b64 s[2:3], -1
	s_cbranch_scc1 .LBB5_9
; %bb.11:                               ;   in Loop: Header=BB5_10 Depth=2
	v_add_u32_e32 v1, s43, v10
	v_cmp_eq_u32_e32 vcc, 0, v1
	s_and_b64 s[40:41], s[22:23], vcc
	s_and_saveexec_b64 s[2:3], s[40:41]
	s_cbranch_execz .LBB5_17
; %bb.12:                               ;   in Loop: Header=BB5_10 Depth=2
	s_mul_i32 s40, s13, s45
	s_mul_hi_u32 s41, s12, s45
	s_add_i32 s41, s41, s40
	s_mul_i32 s40, s12, s45
	s_lshl_b64 s[40:41], s[40:41], 3
	s_add_u32 s40, s34, s40
	s_addc_u32 s41, s35, s41
	global_load_dwordx2 v[3:4], v2, s[40:41]
	ds_read_b64 v[5:6], v9
	s_mov_b64 s[40:41], -1
                                        ; implicit-def: $vgpr7
	s_waitcnt vmcnt(0)
	v_cmp_ngt_f32_e64 s[46:47], |v3|, |v4|
	s_and_b64 vcc, exec, s[46:47]
	s_cbranch_vccz .LBB5_14
; %bb.13:                               ;   in Loop: Header=BB5_10 Depth=2
	v_div_scale_f32 v7, s[40:41], v4, v4, v3
	v_div_scale_f32 v8, vcc, v3, v4, v3
	v_rcp_f32_e32 v17, v7
	v_fma_f32 v18, -v7, v17, 1.0
	v_fmac_f32_e32 v17, v18, v17
	v_mul_f32_e32 v18, v8, v17
	v_fma_f32 v19, -v7, v18, v8
	v_fmac_f32_e32 v18, v19, v17
	v_fma_f32 v7, -v7, v18, v8
	v_div_fmas_f32 v7, v7, v17, v18
	v_div_fixup_f32 v7, v7, v4, v3
	v_fma_f32 v8, v3, v7, v4
	v_div_scale_f32 v17, s[40:41], v8, v8, 1.0
	v_div_scale_f32 v18, vcc, 1.0, v8, 1.0
	s_mov_b64 s[40:41], 0
	v_rcp_f32_e32 v19, v17
	v_fma_f32 v20, -v17, v19, 1.0
	v_fmac_f32_e32 v19, v20, v19
	v_mul_f32_e32 v20, v18, v19
	v_fma_f32 v21, -v17, v20, v18
	v_fmac_f32_e32 v20, v21, v19
	v_fma_f32 v17, -v17, v20, v18
	v_div_fmas_f32 v17, v17, v19, v20
	s_waitcnt lgkmcnt(0)
	v_fma_f32 v18, v7, v5, v6
	v_fma_f32 v19, v7, v6, -v5
	v_div_fixup_f32 v8, v17, v8, 1.0
	v_mul_f32_e32 v7, v8, v18
	v_mul_f32_e32 v8, v8, v19
.LBB5_14:                               ;   in Loop: Header=BB5_10 Depth=2
	s_andn2_b64 vcc, exec, s[40:41]
	s_cbranch_vccnz .LBB5_16
; %bb.15:                               ;   in Loop: Header=BB5_10 Depth=2
	v_div_scale_f32 v7, s[40:41], v3, v3, v4
	v_div_scale_f32 v8, vcc, v4, v3, v4
	v_rcp_f32_e32 v17, v7
	v_fma_f32 v18, -v7, v17, 1.0
	v_fmac_f32_e32 v17, v18, v17
	v_mul_f32_e32 v18, v8, v17
	v_fma_f32 v19, -v7, v18, v8
	v_fmac_f32_e32 v18, v19, v17
	v_fma_f32 v7, -v7, v18, v8
	v_div_fmas_f32 v7, v7, v17, v18
	v_div_fixup_f32 v7, v7, v3, v4
	v_fmac_f32_e32 v3, v4, v7
	v_div_scale_f32 v4, s[40:41], v3, v3, 1.0
	v_div_scale_f32 v8, vcc, 1.0, v3, 1.0
	v_rcp_f32_e32 v17, v4
	v_fma_f32 v18, -v4, v17, 1.0
	v_fmac_f32_e32 v17, v18, v17
	v_mul_f32_e32 v18, v8, v17
	v_fma_f32 v19, -v4, v18, v8
	v_fmac_f32_e32 v18, v19, v17
	v_fma_f32 v4, -v4, v18, v8
	v_div_fmas_f32 v4, v4, v17, v18
	s_waitcnt lgkmcnt(0)
	v_fma_f32 v8, v7, v6, v5
	v_fma_f32 v5, -v7, v5, v6
	v_div_fixup_f32 v3, v4, v3, 1.0
	v_mul_f32_e32 v7, v3, v8
	v_mul_f32_e32 v8, v3, v5
.LBB5_16:                               ;   in Loop: Header=BB5_10 Depth=2
	ds_write_b64 v9, v[7:8]
.LBB5_17:                               ;   in Loop: Header=BB5_10 Depth=2
	s_or_b64 exec, exec, s[2:3]
	v_cmp_gt_u32_e32 vcc, s43, v0
	v_cmp_le_i32_e64 s[2:3], s45, v14
	s_and_b64 s[40:41], s[38:39], vcc
	s_and_b64 s[40:41], s[40:41], s[2:3]
	s_waitcnt lgkmcnt(0)
	s_barrier
	s_and_saveexec_b64 s[2:3], s[40:41]
	s_cbranch_execz .LBB5_8
; %bb.18:                               ;   in Loop: Header=BB5_10 Depth=2
	v_lshlrev_b64 v[3:4], 3, v[1:2]
	v_mov_b32_e32 v1, s44
	v_add_co_u32_e32 v3, vcc, v15, v3
	v_addc_co_u32_e32 v4, vcc, v16, v4, vcc
	global_load_dwordx2 v[3:4], v[3:4], off
	ds_read_b64 v[5:6], v1
	ds_read_b64 v[7:8], v9
	s_waitcnt vmcnt(0) lgkmcnt(1)
	v_mul_f32_e32 v1, v6, v4
	v_mul_f32_e32 v4, v5, v4
	v_fma_f32 v1, v5, v3, -v1
	v_fmac_f32_e32 v4, v6, v3
	s_waitcnt lgkmcnt(0)
	v_sub_f32_e32 v3, v7, v1
	v_sub_f32_e32 v4, v8, v4
	ds_write_b64 v9, v[3:4]
	s_branch .LBB5_8
.LBB5_19:                               ;   in Loop: Header=BB5_5 Depth=1
	s_add_i32 s49, s42, 0xfffffe00
	s_cmp_lt_i32 s42, 1
	s_cselect_b64 s[2:3], -1, 0
	s_and_b64 vcc, exec, s[2:3]
	s_waitcnt lgkmcnt(0)
	s_barrier
	s_cbranch_vccnz .LBB5_39
; %bb.20:                               ;   in Loop: Header=BB5_5 Depth=1
	v_mad_i64_i32 v[3:4], s[38:39], v11, -8, s[16:17]
	s_mov_b64 s[38:39], 0
	v_mov_b32_e32 v1, v11
	v_mov_b32_e32 v7, v0
	s_mov_b32 s50, s49
                                        ; implicit-def: $sgpr40_sgpr41
	s_branch .LBB5_23
.LBB5_21:                               ;   in Loop: Header=BB5_23 Depth=2
	v_mad_u64_u32 v[5:6], s[44:45], s20, v14, 0
	s_add_i32 s46, s50, 0xfffffe00
	s_cmp_lt_i32 s50, 1
	v_mad_u64_u32 v[16:17], s[44:45], s21, v14, v[6:7]
	v_mov_b32_e32 v14, s33
	s_cselect_b64 s[44:45], -1, 0
	v_mov_b32_e32 v6, v16
	v_lshlrev_b64 v[5:6], 3, v[5:6]
	s_andn2_b64 s[40:41], s[40:41], exec
	v_add_co_u32_e32 v5, vcc, s24, v5
	v_addc_co_u32_e32 v6, vcc, v14, v6, vcc
	global_load_dwordx2 v[16:17], v[5:6], off
	v_add_co_u32_e32 v3, vcc, 0x1000, v3
	s_and_b64 s[44:45], s[44:45], exec
	v_add_u32_e32 v1, 0xfffffe00, v1
	v_addc_co_u32_e32 v4, vcc, 0, v4, vcc
	s_or_b64 s[40:41], s[40:41], s[44:45]
	s_mov_b32 s50, s46
	s_waitcnt vmcnt(0)
	v_sub_f32_e32 v14, v16, v15
	v_sub_f32_e32 v15, v17, v8
	global_store_dwordx2 v[5:6], v[14:15], off
.LBB5_22:                               ;   in Loop: Header=BB5_23 Depth=2
	s_or_b64 exec, exec, s[42:43]
	s_and_b64 s[42:43], exec, s[40:41]
	s_or_b64 s[38:39], s[42:43], s[38:39]
	s_andn2_b64 exec, exec, s[38:39]
	s_cbranch_execz .LBB5_38
.LBB5_23:                               ;   Parent Loop BB5_5 Depth=1
                                        ; =>  This Loop Header: Depth=2
                                        ;       Child Loop BB5_26 Depth 3
	v_add_u32_e32 v14, s50, v0
	v_cmp_lt_i32_e32 vcc, -1, v14
	s_or_b64 s[40:41], s[40:41], exec
	s_and_saveexec_b64 s[42:43], vcc
	s_cbranch_execz .LBB5_22
; %bb.24:                               ;   in Loop: Header=BB5_23 Depth=2
	v_mad_u64_u32 v[5:6], s[44:45], s18, v1, v[3:4]
	v_add_u32_e32 v16, s26, v14
	v_add_u32_e32 v17, 0xfffffdff, v7
	v_mad_u64_u32 v[18:19], s[44:45], s19, v1, v[6:7]
	v_add_u32_e32 v7, 0xfffffe00, v7
	v_mov_b32_e32 v8, 0
	v_mov_b32_e32 v6, v18
	s_mov_b32 s51, 0
	s_movk_i32 s52, 0x3000
	v_mov_b32_e32 v15, 0
	s_branch .LBB5_26
.LBB5_25:                               ;   in Loop: Header=BB5_26 Depth=3
	s_or_b64 exec, exec, s[44:45]
	s_add_i32 s51, s51, 2
	s_add_i32 s52, s52, 16
	v_add_co_u32_e32 v5, vcc, 16, v5
	s_cmpk_eq_i32 s51, 0x200
	v_addc_co_u32_e32 v6, vcc, 0, v6, vcc
	s_cbranch_scc1 .LBB5_21
.LBB5_26:                               ;   Parent Loop BB5_5 Depth=1
                                        ;     Parent Loop BB5_23 Depth=2
                                        ; =>    This Inner Loop Header: Depth=3
	v_cmp_ne_u32_e32 vcc, s51, v7
	s_add_i32 s53, s48, s51
	s_or_b64 s[44:45], s[22:23], vcc
	s_and_saveexec_b64 s[46:47], s[44:45]
	s_xor_b64 s[44:45], exec, s[46:47]
	s_cbranch_execz .LBB5_30
; %bb.27:                               ;   in Loop: Header=BB5_26 Depth=3
	s_add_i32 s46, s53, 0xfffffe00
	v_cmp_le_i32_e32 vcc, s46, v16
	s_and_saveexec_b64 s[46:47], vcc
	s_cbranch_execz .LBB5_29
; %bb.28:                               ;   in Loop: Header=BB5_26 Depth=3
	global_load_dwordx2 v[18:19], v[5:6], off
	v_mov_b32_e32 v20, s52
	ds_read_b64 v[20:21], v20
	s_waitcnt vmcnt(0) lgkmcnt(0)
	v_mul_f32_e32 v22, v21, v19
	v_mul_f32_e32 v19, v20, v19
	v_fma_f32 v20, v20, v18, -v22
	v_fmac_f32_e32 v19, v21, v18
	v_add_f32_e32 v15, v15, v20
	v_add_f32_e32 v8, v8, v19
.LBB5_29:                               ;   in Loop: Header=BB5_26 Depth=3
	s_or_b64 exec, exec, s[46:47]
.LBB5_30:                               ;   in Loop: Header=BB5_26 Depth=3
	s_andn2_saveexec_b64 s[44:45], s[44:45]
	s_cbranch_execz .LBB5_32
; %bb.31:                               ;   in Loop: Header=BB5_26 Depth=3
	v_mov_b32_e32 v18, s52
	ds_read_b64 v[18:19], v18
	s_waitcnt lgkmcnt(0)
	v_add_f32_e32 v15, v15, v18
	v_add_f32_e32 v8, v8, v19
.LBB5_32:                               ;   in Loop: Header=BB5_26 Depth=3
	s_or_b64 exec, exec, s[44:45]
	v_cmp_ne_u32_e32 vcc, s51, v17
	s_or_b64 s[44:45], s[22:23], vcc
	s_and_saveexec_b64 s[46:47], s[44:45]
	s_xor_b64 s[44:45], exec, s[46:47]
	s_cbranch_execz .LBB5_36
; %bb.33:                               ;   in Loop: Header=BB5_26 Depth=3
	s_addk_i32 s53, 0xfe01
	v_cmp_le_i32_e32 vcc, s53, v16
	s_and_saveexec_b64 s[46:47], vcc
	s_cbranch_execz .LBB5_35
; %bb.34:                               ;   in Loop: Header=BB5_26 Depth=3
	global_load_dwordx2 v[18:19], v[5:6], off offset:8
	v_mov_b32_e32 v20, s52
	ds_read_b64 v[20:21], v20 offset:8
	s_waitcnt vmcnt(0) lgkmcnt(0)
	v_mul_f32_e32 v22, v21, v19
	v_mul_f32_e32 v19, v20, v19
	v_fma_f32 v20, v20, v18, -v22
	v_fmac_f32_e32 v19, v21, v18
	v_add_f32_e32 v15, v15, v20
	v_add_f32_e32 v8, v8, v19
.LBB5_35:                               ;   in Loop: Header=BB5_26 Depth=3
	s_or_b64 exec, exec, s[46:47]
.LBB5_36:                               ;   in Loop: Header=BB5_26 Depth=3
	s_andn2_saveexec_b64 s[44:45], s[44:45]
	s_cbranch_execz .LBB5_25
; %bb.37:                               ;   in Loop: Header=BB5_26 Depth=3
	v_mov_b32_e32 v18, s52
	ds_read_b64 v[18:19], v18 offset:8
	s_waitcnt lgkmcnt(0)
	v_add_f32_e32 v15, v15, v18
	v_add_f32_e32 v8, v8, v19
	s_branch .LBB5_25
.LBB5_38:                               ;   in Loop: Header=BB5_5 Depth=1
	s_or_b64 exec, exec, s[38:39]
.LBB5_39:                               ;   in Loop: Header=BB5_5 Depth=1
	s_and_saveexec_b64 s[38:39], s[0:1]
	s_cbranch_execz .LBB5_4
; %bb.40:                               ;   in Loop: Header=BB5_5 Depth=1
	v_mad_u64_u32 v[3:4], s[0:1], s20, v13, 0
	v_mov_b32_e32 v1, v4
	v_mad_u64_u32 v[4:5], s[0:1], s21, v13, v[1:2]
	ds_read_b64 v[5:6], v9
	v_mov_b32_e32 v1, s33
	v_lshlrev_b64 v[3:4], 3, v[3:4]
	v_add_co_u32_e32 v3, vcc, s24, v3
	v_addc_co_u32_e32 v4, vcc, v1, v4, vcc
	s_waitcnt lgkmcnt(0)
	global_store_dwordx2 v[3:4], v[5:6], off
	s_branch .LBB5_4
.LBB5_41:
	s_mov_b64 s[0:1], 0
.LBB5_42:
	s_andn2_b64 vcc, exec, s[0:1]
	s_cbranch_vccnz .LBB5_82
; %bb.43:
	s_andn2_b64 vcc, exec, s[6:7]
	s_cbranch_vccnz .LBB5_82
; %bb.44:
	s_lshl_b64 s[16:17], s[12:13], 3
	s_add_u32 s18, s16, -8
	s_addc_u32 s22, s17, -1
	s_ashr_i32 s27, s26, 31
	s_lshl_b64 s[0:1], s[26:27], 3
	s_add_u32 s2, s8, s0
	s_addc_u32 s3, s9, s1
	s_add_u32 s2, s2, s30
	s_addc_u32 s3, s3, s31
	;; [unrolled: 2-line block ×3, first 2 shown]
	v_mov_b32_e32 v1, s2
	v_mov_b32_e32 v2, s3
	v_mad_u64_u32 v[1:2], s[18:19], s18, v0, v[1:2]
	v_or_b32_e32 v16, 0x200, v0
	s_mov_b32 s53, 0
	v_mad_u64_u32 v[2:3], s[18:19], s22, v0, v[2:3]
	v_mov_b32_e32 v3, 0x1000
	s_lshl_b64 s[18:19], s[12:13], 12
	v_lshl_or_b32 v15, v0, 3, v3
	s_add_u32 s27, s28, s30
	v_mad_u64_u32 v[3:4], s[22:23], s12, v16, 0
	s_addc_u32 s38, s29, s31
	s_add_u32 s0, s27, s0
	s_addc_u32 s22, s38, s1
	s_add_u32 s23, s8, s0
	v_mad_u64_u32 v[4:5], s[0:1], s13, v16, v[4:5]
	s_addc_u32 s0, s9, s22
	s_add_u32 s22, s23, 4
	s_addc_u32 s23, s0, 0
	v_lshlrev_b64 v[3:4], 3, v[3:4]
	s_add_u32 s27, s18, 0x1000
	s_addc_u32 s50, s19, 0
	v_mov_b32_e32 v5, s3
	v_add_co_u32_e32 v3, vcc, s2, v3
	s_add_u32 s51, s18, 0xfffff000
	v_addc_co_u32_e32 v4, vcc, v5, v4, vcc
	s_addc_u32 s52, s19, -1
	s_xor_b64 s[38:39], s[4:5], -1
	s_branch .LBB5_46
.LBB5_45:                               ;   in Loop: Header=BB5_46 Depth=1
	s_or_b64 exec, exec, s[40:41]
	v_mov_b32_e32 v5, s19
	v_add_co_u32_e32 v1, vcc, s18, v1
	v_addc_co_u32_e32 v2, vcc, v2, v5, vcc
	v_mov_b32_e32 v5, s50
	v_add_co_u32_e32 v3, vcc, s27, v3
	s_add_u32 s22, s22, s18
	v_addc_co_u32_e32 v4, vcc, v4, v5, vcc
	s_addc_u32 s23, s23, s19
	v_add_u32_e32 v16, 0x200, v16
	s_and_b64 vcc, exec, s[2:3]
	s_mov_b32 s53, s54
	s_waitcnt vmcnt(0)
	s_barrier
	s_cbranch_vccnz .LBB5_82
.LBB5_46:                               ; =>This Loop Header: Depth=1
                                        ;     Child Loop BB5_51 Depth 2
                                        ;     Child Loop BB5_64 Depth 2
                                        ;       Child Loop BB5_67 Depth 3
	v_add_u32_e32 v17, s53, v0
	v_cmp_le_i32_e32 vcc, s25, v17
	v_cmp_gt_i32_e64 s[0:1], s25, v17
	s_and_saveexec_b64 s[40:41], s[0:1]
	s_cbranch_execz .LBB5_48
; %bb.47:                               ;   in Loop: Header=BB5_46 Depth=1
	v_mad_u64_u32 v[5:6], s[2:3], s20, v17, 0
	v_mad_u64_u32 v[6:7], s[2:3], s21, v17, v[6:7]
	v_mov_b32_e32 v7, s33
	v_lshlrev_b64 v[5:6], 3, v[5:6]
	v_add_co_u32_e64 v5, s[2:3], s24, v5
	v_addc_co_u32_e64 v6, s[2:3], v7, v6, s[2:3]
	global_load_dwordx2 v[5:6], v[5:6], off
	s_waitcnt vmcnt(0)
	ds_write_b64 v15, v[5:6]
.LBB5_48:                               ;   in Loop: Header=BB5_46 Depth=1
	s_or_b64 exec, exec, s[40:41]
	v_mov_b32_e32 v5, s22
	v_mov_b32_e32 v8, v2
	v_subrev_u32_e32 v18, s26, v17
	s_mov_b32 s44, 0
	s_movk_i32 s45, 0x1000
	v_mov_b32_e32 v6, s23
	s_xor_b64 s[40:41], vcc, -1
	v_mov_b32_e32 v7, v1
	s_waitcnt lgkmcnt(0)
	s_barrier
	s_branch .LBB5_51
.LBB5_49:                               ;   in Loop: Header=BB5_51 Depth=2
	s_or_b64 exec, exec, s[2:3]
	v_add_co_u32_e32 v7, vcc, 8, v7
	s_add_i32 s44, s44, 1
	s_add_i32 s45, s45, 8
	v_addc_co_u32_e32 v8, vcc, 0, v8, vcc
	v_mov_b32_e32 v9, s17
	v_add_co_u32_e32 v5, vcc, s16, v5
	s_cmpk_eq_i32 s44, 0x200
	v_addc_co_u32_e32 v6, vcc, v6, v9, vcc
	s_cselect_b64 s[2:3], -1, 0
.LBB5_50:                               ;   in Loop: Header=BB5_51 Depth=2
	s_and_b64 vcc, exec, s[2:3]
	s_cbranch_vccnz .LBB5_60
.LBB5_51:                               ;   Parent Loop BB5_46 Depth=1
                                        ; =>  This Inner Loop Header: Depth=2
	s_add_i32 s46, s53, s44
	s_cmp_ge_i32 s46, s25
	s_mov_b64 s[2:3], -1
	s_cbranch_scc1 .LBB5_50
; %bb.52:                               ;   in Loop: Header=BB5_51 Depth=2
	v_cmp_eq_u32_e32 vcc, s44, v0
	s_and_b64 s[42:43], s[38:39], vcc
	s_and_saveexec_b64 s[2:3], s[42:43]
	s_cbranch_execz .LBB5_58
; %bb.53:                               ;   in Loop: Header=BB5_51 Depth=2
	global_load_dwordx2 v[9:10], v[5:6], off offset:-4
	ds_read_b64 v[11:12], v15
	s_mov_b64 s[42:43], -1
                                        ; implicit-def: $vgpr13
	s_waitcnt vmcnt(0)
	v_cmp_ngt_f32_e64 s[48:49], |v9|, |v10|
	s_and_b64 vcc, exec, s[48:49]
	s_cbranch_vccz .LBB5_55
; %bb.54:                               ;   in Loop: Header=BB5_51 Depth=2
	v_div_scale_f32 v13, s[42:43], v10, v10, v9
	v_div_scale_f32 v14, vcc, v9, v10, v9
	v_rcp_f32_e32 v19, v13
	v_fma_f32 v20, -v13, v19, 1.0
	v_fmac_f32_e32 v19, v20, v19
	v_mul_f32_e32 v20, v14, v19
	v_fma_f32 v21, -v13, v20, v14
	v_fmac_f32_e32 v20, v21, v19
	v_fma_f32 v13, -v13, v20, v14
	v_div_fmas_f32 v13, v13, v19, v20
	v_div_fixup_f32 v13, v13, v10, v9
	v_fma_f32 v14, v9, v13, v10
	v_div_scale_f32 v19, s[42:43], v14, v14, 1.0
	v_div_scale_f32 v20, vcc, 1.0, v14, 1.0
	s_mov_b64 s[42:43], 0
	v_rcp_f32_e32 v21, v19
	v_fma_f32 v22, -v19, v21, 1.0
	v_fmac_f32_e32 v21, v22, v21
	v_mul_f32_e32 v22, v20, v21
	v_fma_f32 v23, -v19, v22, v20
	v_fmac_f32_e32 v22, v23, v21
	v_fma_f32 v19, -v19, v22, v20
	v_div_fmas_f32 v19, v19, v21, v22
	s_waitcnt lgkmcnt(0)
	v_fma_f32 v20, v13, v11, v12
	v_fma_f32 v21, v13, v12, -v11
	v_div_fixup_f32 v14, v19, v14, 1.0
	v_mul_f32_e32 v13, v14, v20
	v_mul_f32_e32 v14, v14, v21
.LBB5_55:                               ;   in Loop: Header=BB5_51 Depth=2
	s_andn2_b64 vcc, exec, s[42:43]
	s_cbranch_vccnz .LBB5_57
; %bb.56:                               ;   in Loop: Header=BB5_51 Depth=2
	v_div_scale_f32 v13, s[42:43], v9, v9, v10
	v_div_scale_f32 v14, vcc, v10, v9, v10
	v_rcp_f32_e32 v19, v13
	v_fma_f32 v20, -v13, v19, 1.0
	v_fmac_f32_e32 v19, v20, v19
	v_mul_f32_e32 v20, v14, v19
	v_fma_f32 v21, -v13, v20, v14
	v_fmac_f32_e32 v20, v21, v19
	v_fma_f32 v13, -v13, v20, v14
	v_div_fmas_f32 v13, v13, v19, v20
	v_div_fixup_f32 v13, v13, v9, v10
	v_fmac_f32_e32 v9, v10, v13
	v_div_scale_f32 v10, s[42:43], v9, v9, 1.0
	v_div_scale_f32 v14, vcc, 1.0, v9, 1.0
	v_rcp_f32_e32 v19, v10
	v_fma_f32 v20, -v10, v19, 1.0
	v_fmac_f32_e32 v19, v20, v19
	v_mul_f32_e32 v20, v14, v19
	v_fma_f32 v21, -v10, v20, v14
	v_fmac_f32_e32 v20, v21, v19
	v_fma_f32 v10, -v10, v20, v14
	v_div_fmas_f32 v10, v10, v19, v20
	s_waitcnt lgkmcnt(0)
	v_fma_f32 v14, v13, v12, v11
	v_fma_f32 v11, -v13, v11, v12
	v_div_fixup_f32 v9, v10, v9, 1.0
	v_mul_f32_e32 v13, v9, v14
	v_mul_f32_e32 v14, v9, v11
.LBB5_57:                               ;   in Loop: Header=BB5_51 Depth=2
	ds_write_b64 v15, v[13:14]
.LBB5_58:                               ;   in Loop: Header=BB5_51 Depth=2
	s_or_b64 exec, exec, s[2:3]
	v_cmp_lt_u32_e32 vcc, s44, v0
	v_cmp_ge_i32_e64 s[2:3], s46, v18
	s_and_b64 s[42:43], s[40:41], vcc
	s_and_b64 s[42:43], s[42:43], s[2:3]
	s_waitcnt lgkmcnt(0)
	s_barrier
	s_and_saveexec_b64 s[2:3], s[42:43]
	s_cbranch_execz .LBB5_49
; %bb.59:                               ;   in Loop: Header=BB5_51 Depth=2
	global_load_dwordx2 v[9:10], v[7:8], off
	v_mov_b32_e32 v11, s45
	ds_read_b64 v[11:12], v11
	ds_read_b64 v[13:14], v15
	s_waitcnt vmcnt(0) lgkmcnt(1)
	v_mul_f32_e32 v19, v12, v10
	v_mul_f32_e32 v10, v11, v10
	v_fma_f32 v11, v11, v9, -v19
	v_fmac_f32_e32 v10, v12, v9
	s_waitcnt lgkmcnt(0)
	v_sub_f32_e32 v9, v13, v11
	v_sub_f32_e32 v10, v14, v10
	ds_write_b64 v15, v[9:10]
	s_branch .LBB5_49
.LBB5_60:                               ;   in Loop: Header=BB5_46 Depth=1
	s_add_i32 s54, s53, 0x200
	s_cmp_ge_i32 s54, s25
	s_cselect_b64 s[2:3], -1, 0
	s_and_b64 vcc, exec, s[2:3]
	s_waitcnt lgkmcnt(0)
	s_barrier
	s_cbranch_vccnz .LBB5_80
; %bb.61:                               ;   in Loop: Header=BB5_46 Depth=1
	v_mad_i64_i32 v[5:6], s[40:41], v16, -8, v[3:4]
	s_mov_b64 s[40:41], 0
	v_mov_b32_e32 v9, v0
	s_mov_b32 s55, s54
                                        ; implicit-def: $sgpr42_sgpr43
	s_branch .LBB5_64
.LBB5_62:                               ;   in Loop: Header=BB5_64 Depth=2
	v_mad_u64_u32 v[7:8], s[46:47], s20, v12, 0
	s_addk_i32 s55, 0x200
	s_cmp_ge_i32 s55, s25
	v_mad_u64_u32 v[12:13], s[46:47], s21, v12, v[8:9]
	v_mov_b32_e32 v13, s33
	s_cselect_b64 s[46:47], -1, 0
	v_mov_b32_e32 v8, v12
	v_lshlrev_b64 v[7:8], 3, v[7:8]
	v_mov_b32_e32 v14, s52
	v_add_co_u32_e32 v7, vcc, s24, v7
	v_addc_co_u32_e32 v8, vcc, v13, v8, vcc
	global_load_dwordx2 v[12:13], v[7:8], off
	v_add_co_u32_e32 v5, vcc, s51, v5
	s_andn2_b64 s[42:43], s[42:43], exec
	s_and_b64 s[46:47], s[46:47], exec
	v_addc_co_u32_e32 v6, vcc, v6, v14, vcc
	s_or_b64 s[42:43], s[42:43], s[46:47]
	s_waitcnt vmcnt(0)
	v_sub_f32_e32 v11, v12, v11
	v_sub_f32_e32 v12, v13, v10
	global_store_dwordx2 v[7:8], v[11:12], off
.LBB5_63:                               ;   in Loop: Header=BB5_64 Depth=2
	s_or_b64 exec, exec, s[44:45]
	s_and_b64 s[44:45], exec, s[42:43]
	s_or_b64 s[40:41], s[44:45], s[40:41]
	s_andn2_b64 exec, exec, s[40:41]
	s_cbranch_execz .LBB5_79
.LBB5_64:                               ;   Parent Loop BB5_46 Depth=1
                                        ; =>  This Loop Header: Depth=2
                                        ;       Child Loop BB5_67 Depth 3
	v_add_u32_e32 v12, s55, v0
	v_cmp_gt_i32_e32 vcc, s25, v12
	s_or_b64 s[42:43], s[42:43], exec
	s_and_saveexec_b64 s[44:45], vcc
	s_cbranch_execz .LBB5_63
; %bb.65:                               ;   in Loop: Header=BB5_64 Depth=2
	v_mov_b32_e32 v8, v6
	v_subrev_u32_e32 v13, s26, v12
	v_add_u32_e32 v14, 0x1ff, v9
	v_add_u32_e32 v9, 0x200, v9
	v_mov_b32_e32 v10, 0
	s_mov_b32 s56, 0
	s_movk_i32 s57, 0x1000
	v_mov_b32_e32 v7, v5
	v_mov_b32_e32 v11, 0
	s_branch .LBB5_67
.LBB5_66:                               ;   in Loop: Header=BB5_67 Depth=3
	s_or_b64 exec, exec, s[46:47]
	s_add_i32 s56, s56, 2
	s_add_i32 s57, s57, 16
	v_add_co_u32_e32 v7, vcc, 16, v7
	s_cmpk_eq_i32 s56, 0x200
	v_addc_co_u32_e32 v8, vcc, 0, v8, vcc
	s_cbranch_scc1 .LBB5_62
.LBB5_67:                               ;   Parent Loop BB5_46 Depth=1
                                        ;     Parent Loop BB5_64 Depth=2
                                        ; =>    This Inner Loop Header: Depth=3
	v_cmp_ne_u32_e32 vcc, s56, v9
	s_add_i32 s58, s53, s56
	s_or_b64 s[46:47], s[38:39], vcc
	s_and_saveexec_b64 s[48:49], s[46:47]
	s_xor_b64 s[46:47], exec, s[48:49]
	s_cbranch_execz .LBB5_71
; %bb.68:                               ;   in Loop: Header=BB5_67 Depth=3
	s_cmp_lt_i32 s58, s25
	s_cselect_b64 s[48:49], -1, 0
	v_cmp_ge_i32_e32 vcc, s58, v13
	s_and_b64 s[60:61], s[48:49], vcc
	s_and_saveexec_b64 s[48:49], s[60:61]
	s_cbranch_execz .LBB5_70
; %bb.69:                               ;   in Loop: Header=BB5_67 Depth=3
	global_load_dwordx2 v[18:19], v[7:8], off
	v_mov_b32_e32 v20, s57
	ds_read_b64 v[20:21], v20
	s_waitcnt vmcnt(0) lgkmcnt(0)
	v_mul_f32_e32 v22, v21, v19
	v_mul_f32_e32 v19, v20, v19
	v_fma_f32 v20, v20, v18, -v22
	v_fmac_f32_e32 v19, v21, v18
	v_add_f32_e32 v11, v11, v20
	v_add_f32_e32 v10, v10, v19
.LBB5_70:                               ;   in Loop: Header=BB5_67 Depth=3
	s_or_b64 exec, exec, s[48:49]
.LBB5_71:                               ;   in Loop: Header=BB5_67 Depth=3
	s_andn2_saveexec_b64 s[46:47], s[46:47]
	s_cbranch_execz .LBB5_73
; %bb.72:                               ;   in Loop: Header=BB5_67 Depth=3
	v_mov_b32_e32 v18, s57
	ds_read_b64 v[18:19], v18
	s_waitcnt lgkmcnt(0)
	v_add_f32_e32 v11, v11, v18
	v_add_f32_e32 v10, v10, v19
.LBB5_73:                               ;   in Loop: Header=BB5_67 Depth=3
	s_or_b64 exec, exec, s[46:47]
	v_cmp_ne_u32_e32 vcc, s56, v14
	s_or_b64 s[46:47], s[38:39], vcc
	s_and_saveexec_b64 s[48:49], s[46:47]
	s_xor_b64 s[46:47], exec, s[48:49]
	s_cbranch_execz .LBB5_77
; %bb.74:                               ;   in Loop: Header=BB5_67 Depth=3
	s_add_i32 s58, s58, 1
	s_cmp_lt_i32 s58, s25
	s_cselect_b64 s[48:49], -1, 0
	v_cmp_ge_i32_e32 vcc, s58, v13
	s_and_b64 s[58:59], s[48:49], vcc
	s_and_saveexec_b64 s[48:49], s[58:59]
	s_cbranch_execz .LBB5_76
; %bb.75:                               ;   in Loop: Header=BB5_67 Depth=3
	global_load_dwordx2 v[18:19], v[7:8], off offset:8
	v_mov_b32_e32 v20, s57
	ds_read_b64 v[20:21], v20 offset:8
	s_waitcnt vmcnt(0) lgkmcnt(0)
	v_mul_f32_e32 v22, v21, v19
	v_mul_f32_e32 v19, v20, v19
	v_fma_f32 v20, v20, v18, -v22
	v_fmac_f32_e32 v19, v21, v18
	v_add_f32_e32 v11, v11, v20
	v_add_f32_e32 v10, v10, v19
.LBB5_76:                               ;   in Loop: Header=BB5_67 Depth=3
	s_or_b64 exec, exec, s[48:49]
.LBB5_77:                               ;   in Loop: Header=BB5_67 Depth=3
	s_andn2_saveexec_b64 s[46:47], s[46:47]
	s_cbranch_execz .LBB5_66
; %bb.78:                               ;   in Loop: Header=BB5_67 Depth=3
	v_mov_b32_e32 v18, s57
	ds_read_b64 v[18:19], v18 offset:8
	s_waitcnt lgkmcnt(0)
	v_add_f32_e32 v11, v11, v18
	v_add_f32_e32 v10, v10, v19
	s_branch .LBB5_66
.LBB5_79:                               ;   in Loop: Header=BB5_46 Depth=1
	s_or_b64 exec, exec, s[40:41]
.LBB5_80:                               ;   in Loop: Header=BB5_46 Depth=1
	s_and_saveexec_b64 s[40:41], s[0:1]
	s_cbranch_execz .LBB5_45
; %bb.81:                               ;   in Loop: Header=BB5_46 Depth=1
	v_mad_u64_u32 v[5:6], s[0:1], s20, v17, 0
	v_mov_b32_e32 v9, s33
	v_mad_u64_u32 v[6:7], s[0:1], s21, v17, v[6:7]
	ds_read_b64 v[7:8], v15
	v_lshlrev_b64 v[5:6], 3, v[5:6]
	v_add_co_u32_e32 v5, vcc, s24, v5
	v_addc_co_u32_e32 v6, vcc, v9, v6, vcc
	s_waitcnt lgkmcnt(0)
	global_store_dwordx2 v[5:6], v[7:8], off
	s_branch .LBB5_45
.LBB5_82:
	s_mov_b64 s[0:1], 0
.LBB5_83:
	s_andn2_b64 vcc, exec, s[0:1]
	s_cbranch_vccnz .LBB5_165
; %bb.84:
	s_mov_b64 s[0:1], -1
	s_and_b64 vcc, exec, s[36:37]
	s_cbranch_vccz .LBB5_125
; %bb.85:
	s_andn2_b64 vcc, exec, s[6:7]
	s_cbranch_vccnz .LBB5_124
; %bb.86:
	s_lshl_b64 s[16:17], s[12:13], 12
	s_lshl_b64 s[18:19], s[12:13], 3
	s_add_u32 s0, s28, s30
	s_addc_u32 s1, s29, s31
	s_add_u32 s2, s8, s0
	s_addc_u32 s3, s9, s1
	;; [unrolled: 2-line block ×5, first 2 shown]
	s_add_u32 s36, s0, -8
	s_addc_u32 s37, s1, -1
	s_lshl_b64 s[0:1], s[12:13], 4
	s_add_u32 s27, s0, -16
	v_lshlrev_b32_e32 v9, 3, v0
	v_or_b32_e32 v10, 0x200, v0
	s_addc_u32 s60, s1, -1
	s_mov_b32 s61, 0
	s_mov_b64 s[38:39], 0
	s_xor_b64 s[40:41], s[4:5], -1
	v_mov_b32_e32 v2, 0
	s_branch .LBB5_88
.LBB5_87:                               ;   in Loop: Header=BB5_88 Depth=1
	s_or_b64 exec, exec, s[42:43]
	s_add_u32 s34, s34, s16
	s_addc_u32 s35, s35, s17
	s_add_u32 s22, s22, s16
	s_addc_u32 s23, s23, s17
	s_add_u32 s38, s38, 0xfffffe00
	s_addc_u32 s39, s39, -1
	s_add_u32 s36, s36, s16
	v_add_u32_e32 v10, 0x200, v10
	s_addc_u32 s37, s37, s17
	s_and_b64 vcc, exec, s[2:3]
	s_mov_b32 s61, s62
	s_waitcnt vmcnt(0)
	s_barrier
	s_cbranch_vccnz .LBB5_124
.LBB5_88:                               ; =>This Loop Header: Depth=1
                                        ;     Child Loop BB5_92 Depth 2
                                        ;     Child Loop BB5_106 Depth 2
                                        ;       Child Loop BB5_109 Depth 3
	v_add_u32_e32 v11, s61, v0
	v_cmp_le_i32_e32 vcc, s25, v11
	v_cmp_gt_i32_e64 s[0:1], s25, v11
	s_and_saveexec_b64 s[42:43], s[0:1]
	s_cbranch_execz .LBB5_90
; %bb.89:                               ;   in Loop: Header=BB5_88 Depth=1
	v_mad_u64_u32 v[3:4], s[2:3], s20, v11, 0
	v_mov_b32_e32 v1, v4
	v_mad_u64_u32 v[4:5], s[2:3], s21, v11, v[1:2]
	v_mov_b32_e32 v1, s33
	v_lshlrev_b64 v[3:4], 3, v[3:4]
	v_add_co_u32_e64 v3, s[2:3], s24, v3
	v_addc_co_u32_e64 v4, s[2:3], v1, v4, s[2:3]
	global_load_dwordx2 v[3:4], v[3:4], off
	s_waitcnt vmcnt(0)
	ds_write_b64 v9, v[3:4]
.LBB5_90:                               ;   in Loop: Header=BB5_88 Depth=1
	s_or_b64 exec, exec, s[42:43]
	v_subrev_u32_e32 v12, s26, v11
	s_mov_b32 s50, 0
	s_xor_b64 s[42:43], vcc, -1
	s_mov_b64 s[44:45], s[22:23]
	s_mov_b64 s[46:47], s[34:35]
	v_mov_b32_e32 v1, v0
	s_mov_b32 s51, 0
	s_waitcnt lgkmcnt(0)
	s_barrier
	s_branch .LBB5_92
.LBB5_91:                               ;   in Loop: Header=BB5_92 Depth=2
                                        ; implicit-def: $sgpr51
                                        ; implicit-def: $sgpr50
                                        ; implicit-def: $sgpr46_sgpr47
                                        ; implicit-def: $sgpr44_sgpr45
	s_cbranch_execnz .LBB5_102
.LBB5_92:                               ;   Parent Loop BB5_88 Depth=1
                                        ; =>  This Inner Loop Header: Depth=2
	s_add_i32 s52, s61, s51
	s_cmp_ge_i32 s52, s25
	s_cbranch_scc1 .LBB5_91
; %bb.93:                               ;   in Loop: Header=BB5_92 Depth=2
	v_cmp_eq_u32_e32 vcc, s51, v0
	s_and_b64 s[48:49], s[40:41], vcc
	s_and_saveexec_b64 s[2:3], s[48:49]
	s_cbranch_execz .LBB5_99
; %bb.94:                               ;   in Loop: Header=BB5_92 Depth=2
	global_load_dwordx2 v[3:4], v2, s[44:45] offset:-4
	ds_read_b64 v[5:6], v9
	s_mov_b64 s[48:49], -1
                                        ; implicit-def: $vgpr7
	s_waitcnt vmcnt(0)
	v_cmp_ngt_f32_e64 s[54:55], |v3|, |v4|
	s_and_b64 vcc, exec, s[54:55]
	s_cbranch_vccz .LBB5_96
; %bb.95:                               ;   in Loop: Header=BB5_92 Depth=2
	v_div_scale_f32 v7, s[48:49], v4, v4, v3
	v_div_scale_f32 v8, vcc, v3, v4, v3
	v_rcp_f32_e32 v13, v7
	v_fma_f32 v14, -v7, v13, 1.0
	v_fmac_f32_e32 v13, v14, v13
	v_mul_f32_e32 v14, v8, v13
	v_fma_f32 v15, -v7, v14, v8
	v_fmac_f32_e32 v14, v15, v13
	v_fma_f32 v7, -v7, v14, v8
	v_div_fmas_f32 v7, v7, v13, v14
	v_div_fixup_f32 v7, v7, v4, v3
	v_fma_f32 v8, v3, v7, v4
	v_div_scale_f32 v13, s[48:49], v8, v8, 1.0
	v_div_scale_f32 v14, vcc, 1.0, v8, 1.0
	s_mov_b64 s[48:49], 0
	v_rcp_f32_e32 v15, v13
	v_fma_f32 v16, -v13, v15, 1.0
	v_fmac_f32_e32 v15, v16, v15
	v_mul_f32_e32 v16, v14, v15
	v_fma_f32 v17, -v13, v16, v14
	v_fmac_f32_e32 v16, v17, v15
	v_fma_f32 v13, -v13, v16, v14
	v_div_fmas_f32 v13, v13, v15, v16
	s_waitcnt lgkmcnt(0)
	v_fma_f32 v14, v7, v5, v6
	v_fma_f32 v15, v7, v6, -v5
	v_div_fixup_f32 v8, v13, v8, 1.0
	v_mul_f32_e32 v7, v8, v14
	v_mul_f32_e32 v8, v8, v15
.LBB5_96:                               ;   in Loop: Header=BB5_92 Depth=2
	s_andn2_b64 vcc, exec, s[48:49]
	s_cbranch_vccnz .LBB5_98
; %bb.97:                               ;   in Loop: Header=BB5_92 Depth=2
	v_div_scale_f32 v7, s[48:49], v3, v3, v4
	v_div_scale_f32 v8, vcc, v4, v3, v4
	v_rcp_f32_e32 v13, v7
	v_fma_f32 v14, -v7, v13, 1.0
	v_fmac_f32_e32 v13, v14, v13
	v_mul_f32_e32 v14, v8, v13
	v_fma_f32 v15, -v7, v14, v8
	v_fmac_f32_e32 v14, v15, v13
	v_fma_f32 v7, -v7, v14, v8
	v_div_fmas_f32 v7, v7, v13, v14
	v_div_fixup_f32 v7, v7, v3, v4
	v_fmac_f32_e32 v3, v4, v7
	v_div_scale_f32 v4, s[48:49], v3, v3, 1.0
	v_div_scale_f32 v8, vcc, 1.0, v3, 1.0
	v_rcp_f32_e32 v13, v4
	v_fma_f32 v14, -v4, v13, 1.0
	v_fmac_f32_e32 v13, v14, v13
	v_mul_f32_e32 v14, v8, v13
	v_fma_f32 v15, -v4, v14, v8
	v_fmac_f32_e32 v14, v15, v13
	v_fma_f32 v4, -v4, v14, v8
	v_div_fmas_f32 v4, v4, v13, v14
	s_waitcnt lgkmcnt(0)
	v_fma_f32 v8, v7, v6, v5
	v_fma_f32 v5, -v7, v5, v6
	v_div_fixup_f32 v3, v4, v3, 1.0
	v_mul_f32_e32 v7, v3, v8
	v_mul_f32_e32 v8, v3, v5
.LBB5_98:                               ;   in Loop: Header=BB5_92 Depth=2
	ds_write_b64 v9, v[7:8]
.LBB5_99:                               ;   in Loop: Header=BB5_92 Depth=2
	s_or_b64 exec, exec, s[2:3]
	v_cmp_lt_u32_e32 vcc, s51, v0
	v_cmp_ge_i32_e64 s[2:3], s52, v12
	s_and_b64 s[48:49], s[42:43], vcc
	s_and_b64 s[48:49], s[48:49], s[2:3]
	s_waitcnt lgkmcnt(0)
	s_barrier
	s_and_saveexec_b64 s[2:3], s[48:49]
	s_cbranch_execz .LBB5_101
; %bb.100:                              ;   in Loop: Header=BB5_92 Depth=2
	v_lshlrev_b64 v[3:4], 3, v[1:2]
	v_mov_b32_e32 v5, s47
	v_add_co_u32_e32 v3, vcc, s46, v3
	v_addc_co_u32_e32 v4, vcc, v5, v4, vcc
	global_load_dwordx2 v[3:4], v[3:4], off
	v_mov_b32_e32 v5, s50
	ds_read_b64 v[5:6], v5
	ds_read_b64 v[7:8], v9
	s_waitcnt vmcnt(0) lgkmcnt(1)
	v_mul_f32_e32 v13, v6, v4
	v_mul_f32_e32 v4, v5, v4
	v_fma_f32 v5, v5, v3, -v13
	v_fmac_f32_e32 v4, v6, v3
	s_waitcnt lgkmcnt(0)
	v_sub_f32_e32 v3, v7, v5
	v_sub_f32_e32 v4, v8, v4
	ds_write_b64 v9, v[3:4]
.LBB5_101:                              ;   in Loop: Header=BB5_92 Depth=2
	s_or_b64 exec, exec, s[2:3]
	s_add_i32 s51, s51, 1
	s_add_i32 s50, s50, 8
	s_add_u32 s46, s46, s18
	s_addc_u32 s47, s47, s19
	s_add_u32 s44, s44, s18
	s_addc_u32 s45, s45, s19
	s_cmpk_eq_i32 s51, 0x200
	v_add_u32_e32 v1, -1, v1
	s_cselect_b64 s[2:3], -1, 0
	s_and_b64 vcc, exec, s[2:3]
	s_cbranch_vccz .LBB5_92
.LBB5_102:                              ;   in Loop: Header=BB5_88 Depth=1
	s_add_i32 s62, s61, 0x200
	s_cmp_ge_i32 s62, s25
	s_cselect_b64 s[2:3], -1, 0
	s_and_b64 vcc, exec, s[2:3]
	s_waitcnt lgkmcnt(0)
	s_barrier
	s_cbranch_vccnz .LBB5_122
; %bb.103:                              ;   in Loop: Header=BB5_88 Depth=1
	v_ashrrev_i32_e32 v1, 31, v10
	v_mov_b32_e32 v4, s39
	v_add_co_u32_e32 v3, vcc, s38, v10
	v_addc_co_u32_e32 v4, vcc, v4, v1, vcc
	v_lshlrev_b64 v[3:4], 3, v[3:4]
	s_mov_b64 s[42:43], 0
	s_mov_b64 s[44:45], s[34:35]
	v_mov_b32_e32 v1, v0
	s_mov_b64 s[46:47], s[36:37]
	s_mov_b32 s63, s62
                                        ; implicit-def: $sgpr48_sgpr49
	s_branch .LBB5_106
.LBB5_104:                              ;   in Loop: Header=BB5_106 Depth=2
	v_mad_u64_u32 v[12:13], s[52:53], s20, v7, 0
	v_mov_b32_e32 v14, s33
	s_addk_i32 s63, 0x200
	v_mov_b32_e32 v8, v13
	v_mad_u64_u32 v[7:8], s[52:53], s21, v7, v[8:9]
	s_add_u32 s46, s46, 0x1000
	s_addc_u32 s47, s47, 0
	v_mov_b32_e32 v13, v7
	v_lshlrev_b64 v[7:8], 3, v[12:13]
	s_add_u32 s44, s44, 0x1000
	v_add_co_u32_e32 v7, vcc, s24, v7
	v_addc_co_u32_e32 v8, vcc, v14, v8, vcc
	global_load_dwordx2 v[12:13], v[7:8], off
	s_addc_u32 s45, s45, 0
	s_cmp_ge_i32 s63, s25
	s_cselect_b64 s[52:53], -1, 0
	s_andn2_b64 s[48:49], s[48:49], exec
	s_and_b64 s[52:53], s[52:53], exec
	s_or_b64 s[48:49], s[48:49], s[52:53]
	s_waitcnt vmcnt(0)
	v_sub_f32_e32 v12, v12, v6
	v_sub_f32_e32 v13, v13, v5
	global_store_dwordx2 v[7:8], v[12:13], off
.LBB5_105:                              ;   in Loop: Header=BB5_106 Depth=2
	s_or_b64 exec, exec, s[50:51]
	s_and_b64 s[50:51], exec, s[48:49]
	s_or_b64 s[42:43], s[50:51], s[42:43]
	s_andn2_b64 exec, exec, s[42:43]
	s_cbranch_execz .LBB5_121
.LBB5_106:                              ;   Parent Loop BB5_88 Depth=1
                                        ; =>  This Loop Header: Depth=2
                                        ;       Child Loop BB5_109 Depth 3
	v_add_u32_e32 v7, s63, v0
	v_cmp_gt_i32_e32 vcc, s25, v7
	s_or_b64 s[48:49], s[48:49], exec
	s_and_saveexec_b64 s[50:51], vcc
	s_cbranch_execz .LBB5_105
; %bb.107:                              ;   in Loop: Header=BB5_106 Depth=2
	v_subrev_u32_e32 v8, s26, v7
	v_add_u32_e32 v12, 0x1ff, v1
	v_add_u32_e32 v1, 0x200, v1
	v_mov_b32_e32 v5, 0
	s_mov_b32 s64, 0
	s_mov_b64 s[52:53], s[44:45]
	s_mov_b64 s[54:55], s[46:47]
	s_mov_b32 s65, 0
	v_mov_b32_e32 v6, 0
	s_branch .LBB5_109
.LBB5_108:                              ;   in Loop: Header=BB5_109 Depth=3
	s_or_b64 exec, exec, s[56:57]
	s_add_i32 s65, s65, 2
	s_add_u32 s54, s54, s27
	s_addc_u32 s55, s55, s60
	s_add_i32 s64, s64, 16
	s_add_u32 s52, s52, s27
	s_addc_u32 s53, s53, s60
	s_cmpk_eq_i32 s65, 0x200
	s_cbranch_scc1 .LBB5_104
.LBB5_109:                              ;   Parent Loop BB5_88 Depth=1
                                        ;     Parent Loop BB5_106 Depth=2
                                        ; =>    This Inner Loop Header: Depth=3
	v_cmp_ne_u32_e32 vcc, s65, v1
	s_add_i32 s66, s61, s65
	s_or_b64 s[56:57], s[40:41], vcc
	s_and_saveexec_b64 s[58:59], s[56:57]
	s_xor_b64 s[56:57], exec, s[58:59]
	s_cbranch_execz .LBB5_113
; %bb.110:                              ;   in Loop: Header=BB5_109 Depth=3
	s_cmp_lt_i32 s66, s25
	s_cselect_b64 s[58:59], -1, 0
	v_cmp_ge_i32_e32 vcc, s66, v8
	s_and_b64 s[68:69], s[58:59], vcc
	s_and_saveexec_b64 s[58:59], s[68:69]
	s_cbranch_execz .LBB5_112
; %bb.111:                              ;   in Loop: Header=BB5_109 Depth=3
	v_mov_b32_e32 v14, s53
	v_add_co_u32_e32 v13, vcc, s52, v3
	v_addc_co_u32_e32 v14, vcc, v14, v4, vcc
	global_load_dwordx2 v[13:14], v[13:14], off
	v_mov_b32_e32 v15, s64
	ds_read_b64 v[15:16], v15
	s_waitcnt vmcnt(0) lgkmcnt(0)
	v_mul_f32_e32 v17, v16, v14
	v_mul_f32_e32 v14, v15, v14
	v_fma_f32 v15, v15, v13, -v17
	v_fmac_f32_e32 v14, v16, v13
	v_add_f32_e32 v6, v6, v15
	v_add_f32_e32 v5, v5, v14
.LBB5_112:                              ;   in Loop: Header=BB5_109 Depth=3
	s_or_b64 exec, exec, s[58:59]
.LBB5_113:                              ;   in Loop: Header=BB5_109 Depth=3
	s_andn2_saveexec_b64 s[56:57], s[56:57]
	s_cbranch_execz .LBB5_115
; %bb.114:                              ;   in Loop: Header=BB5_109 Depth=3
	v_mov_b32_e32 v13, s64
	ds_read_b64 v[13:14], v13
	s_waitcnt lgkmcnt(0)
	v_add_f32_e32 v6, v6, v13
	v_add_f32_e32 v5, v5, v14
.LBB5_115:                              ;   in Loop: Header=BB5_109 Depth=3
	s_or_b64 exec, exec, s[56:57]
	v_cmp_ne_u32_e32 vcc, s65, v12
	s_or_b64 s[56:57], s[40:41], vcc
	s_and_saveexec_b64 s[58:59], s[56:57]
	s_xor_b64 s[56:57], exec, s[58:59]
	s_cbranch_execz .LBB5_119
; %bb.116:                              ;   in Loop: Header=BB5_109 Depth=3
	s_add_i32 s66, s66, 1
	s_cmp_lt_i32 s66, s25
	s_cselect_b64 s[58:59], -1, 0
	v_cmp_ge_i32_e32 vcc, s66, v8
	s_and_b64 s[66:67], s[58:59], vcc
	s_and_saveexec_b64 s[58:59], s[66:67]
	s_cbranch_execz .LBB5_118
; %bb.117:                              ;   in Loop: Header=BB5_109 Depth=3
	v_mov_b32_e32 v14, s55
	v_add_co_u32_e32 v13, vcc, s54, v3
	v_addc_co_u32_e32 v14, vcc, v14, v4, vcc
	global_load_dwordx2 v[13:14], v[13:14], off
	v_mov_b32_e32 v15, s64
	ds_read_b64 v[15:16], v15 offset:8
	s_waitcnt vmcnt(0) lgkmcnt(0)
	v_mul_f32_e32 v17, v16, v14
	v_mul_f32_e32 v14, v15, v14
	v_fma_f32 v15, v15, v13, -v17
	v_fmac_f32_e32 v14, v16, v13
	v_add_f32_e32 v6, v6, v15
	v_add_f32_e32 v5, v5, v14
.LBB5_118:                              ;   in Loop: Header=BB5_109 Depth=3
	s_or_b64 exec, exec, s[58:59]
.LBB5_119:                              ;   in Loop: Header=BB5_109 Depth=3
	s_andn2_saveexec_b64 s[56:57], s[56:57]
	s_cbranch_execz .LBB5_108
; %bb.120:                              ;   in Loop: Header=BB5_109 Depth=3
	v_mov_b32_e32 v13, s64
	ds_read_b64 v[13:14], v13 offset:8
	s_waitcnt lgkmcnt(0)
	v_add_f32_e32 v6, v6, v13
	v_add_f32_e32 v5, v5, v14
	s_branch .LBB5_108
.LBB5_121:                              ;   in Loop: Header=BB5_88 Depth=1
	s_or_b64 exec, exec, s[42:43]
.LBB5_122:                              ;   in Loop: Header=BB5_88 Depth=1
	s_and_saveexec_b64 s[42:43], s[0:1]
	s_cbranch_execz .LBB5_87
; %bb.123:                              ;   in Loop: Header=BB5_88 Depth=1
	v_mad_u64_u32 v[3:4], s[0:1], s20, v11, 0
	v_mov_b32_e32 v1, v4
	v_mad_u64_u32 v[4:5], s[0:1], s21, v11, v[1:2]
	ds_read_b64 v[5:6], v9
	v_mov_b32_e32 v1, s33
	v_lshlrev_b64 v[3:4], 3, v[3:4]
	v_add_co_u32_e32 v3, vcc, s24, v3
	v_addc_co_u32_e32 v4, vcc, v1, v4, vcc
	s_waitcnt lgkmcnt(0)
	global_store_dwordx2 v[3:4], v[5:6], off
	s_branch .LBB5_87
.LBB5_124:
	s_mov_b64 s[0:1], 0
.LBB5_125:
	s_andn2_b64 vcc, exec, s[0:1]
	s_cbranch_vccnz .LBB5_165
; %bb.126:
	s_andn2_b64 vcc, exec, s[6:7]
	s_cbranch_vccnz .LBB5_165
; %bb.127:
	s_add_i32 s22, s25, 0xfffffe00
	s_add_i32 s6, s25, -1
	s_add_u32 s2, s28, s30
	s_addc_u32 s3, s29, s31
	s_ashr_i32 s27, s26, 31
	s_lshl_b64 s[0:1], s[26:27], 3
	s_add_u32 s2, s2, s0
	s_addc_u32 s3, s3, s1
	s_ashr_i32 s7, s6, 31
	s_lshl_b64 s[0:1], s[6:7], 3
	s_sub_u32 s0, s2, s0
	s_subb_u32 s1, s3, s1
	s_add_u32 s7, s8, s0
	s_addc_u32 s38, s9, s1
	s_lshl_b64 s[16:17], s[12:13], 3
	s_or_b32 s0, s0, 4
	s_add_u32 s18, s8, s0
	s_addc_u32 s19, s9, s1
	s_add_u32 s39, s16, 8
	s_addc_u32 s40, s17, 0
	;; [unrolled: 2-line block ×4, first 2 shown]
	s_ashr_i32 s3, s25, 31
	s_mov_b32 s2, s25
	s_lshl_b64 s[0:1], s[0:1], 3
	s_lshl_b64 s[2:3], s[2:3], 3
	s_sub_u32 s0, s0, s2
	s_subb_u32 s1, s1, s3
	s_add_u32 s0, s8, s0
	s_addc_u32 s1, s9, s1
	s_add_u32 s8, s0, 0xff8
	s_addc_u32 s9, s1, 0
	s_add_i32 s27, s25, 0xfffffe01
	s_add_u32 s41, s0, 0x1000
	s_addc_u32 s42, s1, 0
	s_lshl_b64 s[0:1], s[12:13], 4
	v_mov_b32_e32 v1, 0x2000
	v_add_u32_e32 v2, s25, v0
	s_add_u32 s43, s0, -16
	v_lshl_or_b32 v14, v0, 3, v1
	v_add_u32_e32 v1, 0xfffffe00, v2
	v_add_u32_e32 v15, 0xfffffc00, v2
	s_addc_u32 s44, s1, -1
	v_mov_b32_e32 v3, 0
	s_xor_b64 s[4:5], s[4:5], -1
	s_branch .LBB5_129
.LBB5_128:                              ;   in Loop: Header=BB5_129 Depth=1
	s_or_b64 exec, exec, s[10:11]
	s_addk_i32 s6, 0xfe00
	s_add_u32 s7, s7, 0x1000
	s_addc_u32 s38, s38, 0
	s_add_u32 s18, s18, 0x1000
	s_addc_u32 s19, s19, 0
	s_addk_i32 s25, 0xfe00
	s_add_u32 s8, s8, 0x1000
	s_addc_u32 s9, s9, 0
	s_addk_i32 s27, 0xfe00
	s_add_u32 s41, s41, 0x1000
	v_add_u32_e32 v1, 0xfffffe00, v1
	v_add_u32_e32 v15, 0xfffffe00, v15
	s_addc_u32 s42, s42, 0
	s_and_b64 vcc, exec, s[2:3]
	s_mov_b32 s22, s45
	s_waitcnt vmcnt(0)
	s_barrier
	s_cbranch_vccnz .LBB5_165
.LBB5_129:                              ; =>This Loop Header: Depth=1
                                        ;     Child Loop BB5_134 Depth 2
                                        ;     Child Loop BB5_147 Depth 2
                                        ;       Child Loop BB5_150 Depth 3
	v_add_u32_e32 v16, s22, v0
	v_cmp_gt_i32_e32 vcc, 0, v16
	v_cmp_lt_i32_e64 s[0:1], -1, v16
	s_and_saveexec_b64 s[10:11], s[0:1]
	s_cbranch_execz .LBB5_131
; %bb.130:                              ;   in Loop: Header=BB5_129 Depth=1
	v_mad_u64_u32 v[4:5], s[2:3], s20, v16, 0
	v_mov_b32_e32 v2, v5
	v_mad_u64_u32 v[5:6], s[2:3], s21, v16, v[2:3]
	v_mov_b32_e32 v2, s33
	v_lshlrev_b64 v[4:5], 3, v[4:5]
	v_add_co_u32_e64 v4, s[2:3], s24, v4
	v_addc_co_u32_e64 v5, s[2:3], v2, v5, s[2:3]
	global_load_dwordx2 v[4:5], v[4:5], off
	s_waitcnt vmcnt(0)
	ds_write_b64 v14, v[4:5]
.LBB5_131:                              ;   in Loop: Header=BB5_129 Depth=1
	s_or_b64 exec, exec, s[10:11]
	v_mov_b32_e32 v2, v3
	v_lshlrev_b64 v[4:5], 3, v[1:2]
	v_mov_b32_e32 v2, s38
	v_add_co_u32_e64 v4, s[2:3], s7, v4
	v_mov_b32_e32 v6, s18
	v_addc_co_u32_e64 v5, s[2:3], v2, v5, s[2:3]
	v_add_u32_e32 v2, s26, v16
	s_movk_i32 s14, 0x1ff
	s_movk_i32 s15, 0x2ff8
	v_mov_b32_e32 v7, s19
	s_xor_b64 s[10:11], vcc, -1
	s_mov_b32 s23, s6
	s_waitcnt lgkmcnt(0)
	s_barrier
	s_branch .LBB5_134
.LBB5_132:                              ;   in Loop: Header=BB5_134 Depth=2
	s_or_b64 exec, exec, s[2:3]
	v_add_co_u32_e32 v4, vcc, 8, v4
	s_add_i32 s14, s14, -1
	s_add_i32 s15, s15, -8
	v_addc_co_u32_e32 v5, vcc, 0, v5, vcc
	s_add_i32 s23, s23, -1
	v_add_co_u32_e32 v6, vcc, 8, v6
	s_cmp_eq_u32 s14, -1
	v_addc_co_u32_e32 v7, vcc, 0, v7, vcc
	s_cselect_b64 s[2:3], -1, 0
.LBB5_133:                              ;   in Loop: Header=BB5_134 Depth=2
	s_and_b64 vcc, exec, s[2:3]
	s_cbranch_vccnz .LBB5_143
.LBB5_134:                              ;   Parent Loop BB5_129 Depth=1
                                        ; =>  This Inner Loop Header: Depth=2
	s_add_i32 s28, s6, s14
	s_addk_i32 s28, 0xfe01
	s_cmp_lt_i32 s28, 0
	s_mov_b64 s[2:3], -1
	s_cbranch_scc1 .LBB5_133
; %bb.135:                              ;   in Loop: Header=BB5_134 Depth=2
	v_cmp_eq_u32_e32 vcc, s14, v0
	s_and_b64 s[12:13], s[4:5], vcc
	s_and_saveexec_b64 s[2:3], s[12:13]
	s_cbranch_execz .LBB5_141
; %bb.136:                              ;   in Loop: Header=BB5_134 Depth=2
	s_mul_i32 s12, s40, s23
	s_mul_hi_u32 s13, s39, s23
	s_add_i32 s12, s13, s12
	s_mul_i32 s13, s39, s23
	v_mov_b32_e32 v9, s12
	v_add_co_u32_e32 v8, vcc, s13, v6
	v_addc_co_u32_e32 v9, vcc, v7, v9, vcc
	global_load_dwordx2 v[8:9], v[8:9], off offset:-4
	ds_read_b64 v[10:11], v14
	s_mov_b64 s[12:13], -1
                                        ; implicit-def: $vgpr12
	s_waitcnt vmcnt(0)
	v_cmp_ngt_f32_e64 s[30:31], |v8|, |v9|
	s_and_b64 vcc, exec, s[30:31]
	s_cbranch_vccz .LBB5_138
; %bb.137:                              ;   in Loop: Header=BB5_134 Depth=2
	v_div_scale_f32 v12, s[12:13], v9, v9, v8
	v_div_scale_f32 v13, vcc, v8, v9, v8
	v_rcp_f32_e32 v17, v12
	v_fma_f32 v18, -v12, v17, 1.0
	v_fmac_f32_e32 v17, v18, v17
	v_mul_f32_e32 v18, v13, v17
	v_fma_f32 v19, -v12, v18, v13
	v_fmac_f32_e32 v18, v19, v17
	v_fma_f32 v12, -v12, v18, v13
	v_div_fmas_f32 v12, v12, v17, v18
	v_div_fixup_f32 v12, v12, v9, v8
	v_fma_f32 v13, v8, v12, v9
	v_div_scale_f32 v17, s[12:13], v13, v13, 1.0
	v_div_scale_f32 v18, vcc, 1.0, v13, 1.0
	s_mov_b64 s[12:13], 0
	v_rcp_f32_e32 v19, v17
	v_fma_f32 v20, -v17, v19, 1.0
	v_fmac_f32_e32 v19, v20, v19
	v_mul_f32_e32 v20, v18, v19
	v_fma_f32 v21, -v17, v20, v18
	v_fmac_f32_e32 v20, v21, v19
	v_fma_f32 v17, -v17, v20, v18
	v_div_fmas_f32 v17, v17, v19, v20
	s_waitcnt lgkmcnt(0)
	v_fma_f32 v18, v12, v10, v11
	v_fma_f32 v19, v12, v11, -v10
	v_div_fixup_f32 v13, v17, v13, 1.0
	v_mul_f32_e32 v12, v13, v18
	v_mul_f32_e32 v13, v13, v19
.LBB5_138:                              ;   in Loop: Header=BB5_134 Depth=2
	s_andn2_b64 vcc, exec, s[12:13]
	s_cbranch_vccnz .LBB5_140
; %bb.139:                              ;   in Loop: Header=BB5_134 Depth=2
	v_div_scale_f32 v12, s[12:13], v8, v8, v9
	v_div_scale_f32 v13, vcc, v9, v8, v9
	v_rcp_f32_e32 v17, v12
	v_fma_f32 v18, -v12, v17, 1.0
	v_fmac_f32_e32 v17, v18, v17
	v_mul_f32_e32 v18, v13, v17
	v_fma_f32 v19, -v12, v18, v13
	v_fmac_f32_e32 v18, v19, v17
	v_fma_f32 v12, -v12, v18, v13
	v_div_fmas_f32 v12, v12, v17, v18
	v_div_fixup_f32 v12, v12, v8, v9
	v_fmac_f32_e32 v8, v9, v12
	v_div_scale_f32 v9, s[12:13], v8, v8, 1.0
	v_div_scale_f32 v13, vcc, 1.0, v8, 1.0
	v_rcp_f32_e32 v17, v9
	v_fma_f32 v18, -v9, v17, 1.0
	v_fmac_f32_e32 v17, v18, v17
	v_mul_f32_e32 v18, v13, v17
	v_fma_f32 v19, -v9, v18, v13
	v_fmac_f32_e32 v18, v19, v17
	v_fma_f32 v9, -v9, v18, v13
	v_div_fmas_f32 v9, v9, v17, v18
	s_waitcnt lgkmcnt(0)
	v_fma_f32 v13, v12, v11, v10
	v_fma_f32 v10, -v12, v10, v11
	v_div_fixup_f32 v8, v9, v8, 1.0
	v_mul_f32_e32 v12, v8, v13
	v_mul_f32_e32 v13, v8, v10
.LBB5_140:                              ;   in Loop: Header=BB5_134 Depth=2
	ds_write_b64 v14, v[12:13]
.LBB5_141:                              ;   in Loop: Header=BB5_134 Depth=2
	s_or_b64 exec, exec, s[2:3]
	v_cmp_gt_u32_e32 vcc, s14, v0
	v_cmp_le_i32_e64 s[2:3], s28, v2
	s_and_b64 s[12:13], s[10:11], vcc
	s_and_b64 s[12:13], s[12:13], s[2:3]
	s_waitcnt lgkmcnt(0)
	s_barrier
	s_and_saveexec_b64 s[2:3], s[12:13]
	s_cbranch_execz .LBB5_132
; %bb.142:                              ;   in Loop: Header=BB5_134 Depth=2
	v_mov_b32_e32 v8, s23
	v_mad_u64_u32 v[8:9], s[12:13], s16, v8, v[4:5]
	s_mul_i32 s12, s17, s23
	v_mov_b32_e32 v10, s15
	v_add_u32_e32 v9, s12, v9
	global_load_dwordx2 v[8:9], v[8:9], off
	ds_read_b64 v[10:11], v10
	ds_read_b64 v[12:13], v14
	s_waitcnt vmcnt(0) lgkmcnt(1)
	v_mul_f32_e32 v17, v11, v9
	v_mul_f32_e32 v9, v10, v9
	v_fma_f32 v10, v10, v8, -v17
	v_fmac_f32_e32 v9, v11, v8
	s_waitcnt lgkmcnt(0)
	v_sub_f32_e32 v8, v12, v10
	v_sub_f32_e32 v9, v13, v9
	ds_write_b64 v14, v[8:9]
	s_branch .LBB5_132
.LBB5_143:                              ;   in Loop: Header=BB5_129 Depth=1
	s_add_i32 s45, s22, 0xfffffe00
	s_cmp_lt_i32 s22, 1
	s_cselect_b64 s[2:3], -1, 0
	s_and_b64 vcc, exec, s[2:3]
	s_waitcnt lgkmcnt(0)
	s_barrier
	s_cbranch_vccnz .LBB5_163
; %bb.144:                              ;   in Loop: Header=BB5_129 Depth=1
	s_mul_i32 s10, s17, s22
	s_mul_hi_u32 s11, s16, s22
	s_add_i32 s11, s11, s10
	s_mul_i32 s10, s16, s22
	s_add_u32 s10, s41, s10
	s_addc_u32 s11, s42, s11
	s_mov_b64 s[12:13], 0
	v_mov_b32_e32 v2, v15
	v_mov_b32_e32 v6, v0
	s_mov_b32 s46, s45
                                        ; implicit-def: $sgpr14_sgpr15
	s_branch .LBB5_147
.LBB5_145:                              ;   in Loop: Header=BB5_147 Depth=2
	v_mad_u64_u32 v[4:5], s[28:29], s20, v8, 0
	s_add_i32 s30, s46, 0xfffffe00
	s_cmp_lt_i32 s46, 1
	v_mad_u64_u32 v[10:11], s[28:29], s21, v8, v[5:6]
	v_mov_b32_e32 v8, s33
	s_cselect_b64 s[28:29], -1, 0
	v_mov_b32_e32 v5, v10
	v_lshlrev_b64 v[4:5], 3, v[4:5]
	s_andn2_b64 s[14:15], s[14:15], exec
	v_add_co_u32_e32 v4, vcc, s24, v4
	v_addc_co_u32_e32 v5, vcc, v8, v5, vcc
	global_load_dwordx2 v[10:11], v[4:5], off
	s_and_b64 s[28:29], s[28:29], exec
	v_add_u32_e32 v2, 0xfffffe00, v2
	s_or_b64 s[14:15], s[14:15], s[28:29]
	s_mov_b32 s46, s30
	s_waitcnt vmcnt(0)
	v_sub_f32_e32 v8, v10, v9
	v_sub_f32_e32 v9, v11, v7
	global_store_dwordx2 v[4:5], v[8:9], off
.LBB5_146:                              ;   in Loop: Header=BB5_147 Depth=2
	s_or_b64 exec, exec, s[22:23]
	s_and_b64 s[22:23], exec, s[14:15]
	s_or_b64 s[12:13], s[22:23], s[12:13]
	s_andn2_b64 exec, exec, s[12:13]
	s_cbranch_execz .LBB5_162
.LBB5_147:                              ;   Parent Loop BB5_129 Depth=1
                                        ; =>  This Loop Header: Depth=2
                                        ;       Child Loop BB5_150 Depth 3
	v_add_u32_e32 v8, s46, v0
	v_cmp_lt_i32_e32 vcc, -1, v8
	s_or_b64 s[14:15], s[14:15], exec
	s_and_saveexec_b64 s[22:23], vcc
	s_cbranch_execz .LBB5_146
; %bb.148:                              ;   in Loop: Header=BB5_147 Depth=2
	v_lshlrev_b64 v[4:5], 3, v[2:3]
	v_add_u32_e32 v10, s26, v8
	v_add_u32_e32 v11, 0xfffffdff, v6
	;; [unrolled: 1-line block ×3, first 2 shown]
	v_mov_b32_e32 v7, 0
	s_mov_b32 s47, 0
	s_movk_i32 s48, 0x2000
	s_mov_b64 s[28:29], s[10:11]
	s_mov_b32 s49, s27
	s_mov_b64 s[30:31], s[8:9]
	v_mov_b32_e32 v9, 0
	s_branch .LBB5_150
.LBB5_149:                              ;   in Loop: Header=BB5_150 Depth=3
	s_or_b64 exec, exec, s[34:35]
	s_add_i32 s47, s47, 2
	s_add_i32 s48, s48, 16
	s_add_u32 s30, s30, -16
	s_addc_u32 s31, s31, -1
	s_add_i32 s49, s49, 2
	s_add_u32 s28, s28, s43
	s_addc_u32 s29, s29, s44
	s_cmpk_eq_i32 s47, 0x200
	s_cbranch_scc1 .LBB5_145
.LBB5_150:                              ;   Parent Loop BB5_129 Depth=1
                                        ;     Parent Loop BB5_147 Depth=2
                                        ; =>    This Inner Loop Header: Depth=3
	v_cmp_ne_u32_e32 vcc, s47, v6
	s_add_i32 s50, s25, s47
	s_or_b64 s[34:35], s[4:5], vcc
	s_and_saveexec_b64 s[36:37], s[34:35]
	s_xor_b64 s[34:35], exec, s[36:37]
	s_cbranch_execz .LBB5_154
; %bb.151:                              ;   in Loop: Header=BB5_150 Depth=3
	s_add_i32 s36, s50, 0xfffffe00
	v_cmp_le_i32_e32 vcc, s36, v10
	s_and_saveexec_b64 s[36:37], vcc
	s_cbranch_execz .LBB5_153
; %bb.152:                              ;   in Loop: Header=BB5_150 Depth=3
	v_mov_b32_e32 v13, s29
	v_add_co_u32_e32 v12, vcc, s28, v4
	v_addc_co_u32_e32 v13, vcc, v13, v5, vcc
	global_load_dwordx2 v[12:13], v[12:13], off
	v_mov_b32_e32 v17, s48
	ds_read_b64 v[17:18], v17
	s_waitcnt vmcnt(0) lgkmcnt(0)
	v_mul_f32_e32 v19, v18, v13
	v_mul_f32_e32 v13, v17, v13
	v_fma_f32 v17, v17, v12, -v19
	v_fmac_f32_e32 v13, v18, v12
	v_add_f32_e32 v9, v9, v17
	v_add_f32_e32 v7, v7, v13
.LBB5_153:                              ;   in Loop: Header=BB5_150 Depth=3
	s_or_b64 exec, exec, s[36:37]
.LBB5_154:                              ;   in Loop: Header=BB5_150 Depth=3
	s_andn2_saveexec_b64 s[34:35], s[34:35]
	s_cbranch_execz .LBB5_156
; %bb.155:                              ;   in Loop: Header=BB5_150 Depth=3
	v_mov_b32_e32 v12, s48
	ds_read_b64 v[12:13], v12
	s_waitcnt lgkmcnt(0)
	v_add_f32_e32 v9, v9, v12
	v_add_f32_e32 v7, v7, v13
.LBB5_156:                              ;   in Loop: Header=BB5_150 Depth=3
	s_or_b64 exec, exec, s[34:35]
	v_cmp_ne_u32_e32 vcc, s47, v11
	s_or_b64 s[34:35], s[4:5], vcc
	s_and_saveexec_b64 s[36:37], s[34:35]
	s_xor_b64 s[34:35], exec, s[36:37]
	s_cbranch_execz .LBB5_160
; %bb.157:                              ;   in Loop: Header=BB5_150 Depth=3
	s_addk_i32 s50, 0xfe01
	v_cmp_le_i32_e32 vcc, s50, v10
	s_and_saveexec_b64 s[36:37], vcc
	s_cbranch_execz .LBB5_159
; %bb.158:                              ;   in Loop: Header=BB5_150 Depth=3
	s_mul_i32 s50, s17, s49
	s_mul_hi_u32 s51, s16, s49
	s_add_i32 s51, s51, s50
	s_mul_i32 s50, s16, s49
	s_add_u32 s50, s30, s50
	s_addc_u32 s51, s31, s51
	v_mov_b32_e32 v13, s51
	v_add_co_u32_e32 v12, vcc, s50, v4
	v_addc_co_u32_e32 v13, vcc, v13, v5, vcc
	global_load_dwordx2 v[12:13], v[12:13], off
	v_mov_b32_e32 v17, s48
	ds_read_b64 v[17:18], v17 offset:8
	s_waitcnt vmcnt(0) lgkmcnt(0)
	v_mul_f32_e32 v19, v18, v13
	v_mul_f32_e32 v13, v17, v13
	v_fma_f32 v17, v17, v12, -v19
	v_fmac_f32_e32 v13, v18, v12
	v_add_f32_e32 v9, v9, v17
	v_add_f32_e32 v7, v7, v13
.LBB5_159:                              ;   in Loop: Header=BB5_150 Depth=3
	s_or_b64 exec, exec, s[36:37]
.LBB5_160:                              ;   in Loop: Header=BB5_150 Depth=3
	s_andn2_saveexec_b64 s[34:35], s[34:35]
	s_cbranch_execz .LBB5_149
; %bb.161:                              ;   in Loop: Header=BB5_150 Depth=3
	v_mov_b32_e32 v12, s48
	ds_read_b64 v[12:13], v12 offset:8
	s_waitcnt lgkmcnt(0)
	v_add_f32_e32 v9, v9, v12
	v_add_f32_e32 v7, v7, v13
	s_branch .LBB5_149
.LBB5_162:                              ;   in Loop: Header=BB5_129 Depth=1
	s_or_b64 exec, exec, s[12:13]
.LBB5_163:                              ;   in Loop: Header=BB5_129 Depth=1
	s_and_saveexec_b64 s[10:11], s[0:1]
	s_cbranch_execz .LBB5_128
; %bb.164:                              ;   in Loop: Header=BB5_129 Depth=1
	v_mad_u64_u32 v[4:5], s[0:1], s20, v16, 0
	v_mov_b32_e32 v2, v5
	v_mad_u64_u32 v[5:6], s[0:1], s21, v16, v[2:3]
	ds_read_b64 v[6:7], v14
	v_mov_b32_e32 v2, s33
	v_lshlrev_b64 v[4:5], 3, v[4:5]
	v_add_co_u32_e32 v4, vcc, s24, v4
	v_addc_co_u32_e32 v5, vcc, v2, v5, vcc
	s_waitcnt lgkmcnt(0)
	global_store_dwordx2 v[4:5], v[6:7], off
	s_branch .LBB5_128
.LBB5_165:
	s_endpgm
	.section	.rodata,"a",@progbits
	.p2align	6, 0x0
	.amdhsa_kernel _ZL19rocblas_tbsv_kernelILb0ELi512EPK19rocblas_complex_numIfEPS1_Ev18rocblas_operation_bbiiT1_lllT2_lll
		.amdhsa_group_segment_fixed_size 16384
		.amdhsa_private_segment_fixed_size 0
		.amdhsa_kernarg_size 80
		.amdhsa_user_sgpr_count 6
		.amdhsa_user_sgpr_private_segment_buffer 1
		.amdhsa_user_sgpr_dispatch_ptr 0
		.amdhsa_user_sgpr_queue_ptr 0
		.amdhsa_user_sgpr_kernarg_segment_ptr 1
		.amdhsa_user_sgpr_dispatch_id 0
		.amdhsa_user_sgpr_flat_scratch_init 0
		.amdhsa_user_sgpr_private_segment_size 0
		.amdhsa_uses_dynamic_stack 0
		.amdhsa_system_sgpr_private_segment_wavefront_offset 0
		.amdhsa_system_sgpr_workgroup_id_x 1
		.amdhsa_system_sgpr_workgroup_id_y 0
		.amdhsa_system_sgpr_workgroup_id_z 0
		.amdhsa_system_sgpr_workgroup_info 0
		.amdhsa_system_vgpr_workitem_id 0
		.amdhsa_next_free_vgpr 29
		.amdhsa_next_free_sgpr 70
		.amdhsa_reserve_vcc 1
		.amdhsa_reserve_flat_scratch 0
		.amdhsa_float_round_mode_32 0
		.amdhsa_float_round_mode_16_64 0
		.amdhsa_float_denorm_mode_32 3
		.amdhsa_float_denorm_mode_16_64 3
		.amdhsa_dx10_clamp 1
		.amdhsa_ieee_mode 1
		.amdhsa_fp16_overflow 0
		.amdhsa_exception_fp_ieee_invalid_op 0
		.amdhsa_exception_fp_denorm_src 0
		.amdhsa_exception_fp_ieee_div_zero 0
		.amdhsa_exception_fp_ieee_overflow 0
		.amdhsa_exception_fp_ieee_underflow 0
		.amdhsa_exception_fp_ieee_inexact 0
		.amdhsa_exception_int_div_zero 0
	.end_amdhsa_kernel
	.section	.text._ZL19rocblas_tbsv_kernelILb0ELi512EPK19rocblas_complex_numIfEPS1_Ev18rocblas_operation_bbiiT1_lllT2_lll,"axG",@progbits,_ZL19rocblas_tbsv_kernelILb0ELi512EPK19rocblas_complex_numIfEPS1_Ev18rocblas_operation_bbiiT1_lllT2_lll,comdat
.Lfunc_end5:
	.size	_ZL19rocblas_tbsv_kernelILb0ELi512EPK19rocblas_complex_numIfEPS1_Ev18rocblas_operation_bbiiT1_lllT2_lll, .Lfunc_end5-_ZL19rocblas_tbsv_kernelILb0ELi512EPK19rocblas_complex_numIfEPS1_Ev18rocblas_operation_bbiiT1_lllT2_lll
                                        ; -- End function
	.set _ZL19rocblas_tbsv_kernelILb0ELi512EPK19rocblas_complex_numIfEPS1_Ev18rocblas_operation_bbiiT1_lllT2_lll.num_vgpr, 24
	.set _ZL19rocblas_tbsv_kernelILb0ELi512EPK19rocblas_complex_numIfEPS1_Ev18rocblas_operation_bbiiT1_lllT2_lll.num_agpr, 0
	.set _ZL19rocblas_tbsv_kernelILb0ELi512EPK19rocblas_complex_numIfEPS1_Ev18rocblas_operation_bbiiT1_lllT2_lll.numbered_sgpr, 70
	.set _ZL19rocblas_tbsv_kernelILb0ELi512EPK19rocblas_complex_numIfEPS1_Ev18rocblas_operation_bbiiT1_lllT2_lll.num_named_barrier, 0
	.set _ZL19rocblas_tbsv_kernelILb0ELi512EPK19rocblas_complex_numIfEPS1_Ev18rocblas_operation_bbiiT1_lllT2_lll.private_seg_size, 0
	.set _ZL19rocblas_tbsv_kernelILb0ELi512EPK19rocblas_complex_numIfEPS1_Ev18rocblas_operation_bbiiT1_lllT2_lll.uses_vcc, 1
	.set _ZL19rocblas_tbsv_kernelILb0ELi512EPK19rocblas_complex_numIfEPS1_Ev18rocblas_operation_bbiiT1_lllT2_lll.uses_flat_scratch, 0
	.set _ZL19rocblas_tbsv_kernelILb0ELi512EPK19rocblas_complex_numIfEPS1_Ev18rocblas_operation_bbiiT1_lllT2_lll.has_dyn_sized_stack, 0
	.set _ZL19rocblas_tbsv_kernelILb0ELi512EPK19rocblas_complex_numIfEPS1_Ev18rocblas_operation_bbiiT1_lllT2_lll.has_recursion, 0
	.set _ZL19rocblas_tbsv_kernelILb0ELi512EPK19rocblas_complex_numIfEPS1_Ev18rocblas_operation_bbiiT1_lllT2_lll.has_indirect_call, 0
	.section	.AMDGPU.csdata,"",@progbits
; Kernel info:
; codeLenInByte = 7028
; TotalNumSgprs: 74
; NumVgprs: 24
; ScratchSize: 0
; MemoryBound: 0
; FloatMode: 240
; IeeeMode: 1
; LDSByteSize: 16384 bytes/workgroup (compile time only)
; SGPRBlocks: 9
; VGPRBlocks: 7
; NumSGPRsForWavesPerEU: 74
; NumVGPRsForWavesPerEU: 29
; Occupancy: 8
; WaveLimiterHint : 0
; COMPUTE_PGM_RSRC2:SCRATCH_EN: 0
; COMPUTE_PGM_RSRC2:USER_SGPR: 6
; COMPUTE_PGM_RSRC2:TRAP_HANDLER: 0
; COMPUTE_PGM_RSRC2:TGID_X_EN: 1
; COMPUTE_PGM_RSRC2:TGID_Y_EN: 0
; COMPUTE_PGM_RSRC2:TGID_Z_EN: 0
; COMPUTE_PGM_RSRC2:TIDIG_COMP_CNT: 0
	.section	.text._ZL19rocblas_tbsv_kernelILb1ELi512EPK19rocblas_complex_numIdEPS1_Ev18rocblas_operation_bbiiT1_lllT2_lll,"axG",@progbits,_ZL19rocblas_tbsv_kernelILb1ELi512EPK19rocblas_complex_numIdEPS1_Ev18rocblas_operation_bbiiT1_lllT2_lll,comdat
	.globl	_ZL19rocblas_tbsv_kernelILb1ELi512EPK19rocblas_complex_numIdEPS1_Ev18rocblas_operation_bbiiT1_lllT2_lll ; -- Begin function _ZL19rocblas_tbsv_kernelILb1ELi512EPK19rocblas_complex_numIdEPS1_Ev18rocblas_operation_bbiiT1_lllT2_lll
	.p2align	8
	.type	_ZL19rocblas_tbsv_kernelILb1ELi512EPK19rocblas_complex_numIdEPS1_Ev18rocblas_operation_bbiiT1_lllT2_lll,@function
_ZL19rocblas_tbsv_kernelILb1ELi512EPK19rocblas_complex_numIdEPS1_Ev18rocblas_operation_bbiiT1_lllT2_lll: ; @_ZL19rocblas_tbsv_kernelILb1ELi512EPK19rocblas_complex_numIdEPS1_Ev18rocblas_operation_bbiiT1_lllT2_lll
; %bb.0:
	s_load_dwordx2 s[0:1], s[4:5], 0x0
	s_load_dwordx4 s[24:27], s[4:5], 0x4
	s_load_dwordx16 s[8:23], s[4:5], 0x10
	s_waitcnt lgkmcnt(0)
	s_bitcmp1_b32 s1, 0
	s_cselect_b64 s[2:3], -1, 0
	s_xor_b64 s[36:37], s[2:3], -1
	s_bitcmp1_b32 s24, 8
	s_mul_i32 s1, s15, s6
	s_mul_hi_u32 s2, s14, s6
	s_cselect_b64 s[4:5], -1, 0
	s_add_i32 s15, s2, s1
	s_mul_i32 s14, s14, s6
	s_lshl_b64 s[28:29], s[14:15], 4
	s_add_u32 s1, s8, s28
	s_addc_u32 s2, s9, s29
	s_lshl_b64 s[30:31], s[10:11], 4
	s_add_u32 s34, s1, s30
	s_addc_u32 s35, s2, s31
	s_mul_i32 s1, s23, s6
	s_mul_hi_u32 s2, s22, s6
	s_add_i32 s3, s2, s1
	s_mul_i32 s2, s22, s6
	s_lshl_b64 s[2:3], s[2:3], 4
	s_add_u32 s1, s16, s2
	s_addc_u32 s6, s17, s3
	s_lshl_b64 s[2:3], s[18:19], 4
	s_add_u32 s24, s1, s2
	s_addc_u32 s33, s6, s3
	s_cmp_gt_i32 s25, 0
	s_cselect_b64 s[6:7], -1, 0
	s_cmpk_lg_i32 s0, 0x6f
	s_mov_b64 s[0:1], -1
	s_cbranch_scc0 .LBB6_83
; %bb.1:
	s_and_b64 vcc, exec, s[36:37]
	s_cbranch_vccz .LBB6_42
; %bb.2:
	s_andn2_b64 vcc, exec, s[6:7]
	s_cbranch_vccnz .LBB6_41
; %bb.3:
	s_add_i32 s42, s25, 0xfffffe00
	s_add_i32 s27, s25, -1
	s_add_u32 s2, s28, s30
	s_addc_u32 s3, s29, s31
	s_ashr_i32 s1, s25, 31
	s_mov_b32 s0, s25
	s_lshl_b64 s[0:1], s[0:1], 4
	s_add_u32 s0, s2, s0
	s_addc_u32 s1, s3, s1
	s_add_u32 s0, s8, s0
	v_mov_b32_e32 v1, 0x6000
	s_addc_u32 s1, s9, s1
	v_lshl_or_b32 v15, v0, 4, v1
	s_add_u32 s16, s0, 0xffffe010
	v_add_u32_e32 v1, s25, v0
	v_sub_u32_e32 v16, 0, v0
	s_addc_u32 s17, s1, -1
	v_add_u32_e32 v17, 0xfffffc00, v1
	s_lshl_b64 s[18:19], s[12:13], 4
	v_mov_b32_e32 v18, s35
	s_xor_b64 s[22:23], s[4:5], -1
	v_mov_b32_e32 v14, 0
	s_mov_b32 s48, s25
	s_branch .LBB6_5
.LBB6_4:                                ;   in Loop: Header=BB6_5 Depth=1
	s_or_b64 exec, exec, s[38:39]
	s_addk_i32 s27, 0xfe00
	s_addk_i32 s48, 0xfe00
	s_add_u32 s16, s16, 0xffffe000
	s_addc_u32 s17, s17, -1
	v_add_u32_e32 v17, 0xfffffe00, v17
	s_andn2_b64 vcc, exec, s[2:3]
	s_mov_b32 s42, s49
	s_waitcnt vmcnt(0)
	s_barrier
	s_cbranch_vccz .LBB6_41
.LBB6_5:                                ; =>This Loop Header: Depth=1
                                        ;     Child Loop BB6_10 Depth 2
                                        ;     Child Loop BB6_23 Depth 2
                                        ;       Child Loop BB6_26 Depth 3
	v_add_u32_e32 v19, s42, v0
	v_cmp_gt_i32_e32 vcc, 0, v19
	v_cmp_lt_i32_e64 s[0:1], -1, v19
	s_and_saveexec_b64 s[38:39], s[0:1]
	s_cbranch_execz .LBB6_7
; %bb.6:                                ;   in Loop: Header=BB6_5 Depth=1
	v_mad_u64_u32 v[1:2], s[2:3], s20, v19, 0
	v_mad_u64_u32 v[2:3], s[2:3], s21, v19, v[2:3]
	v_mov_b32_e32 v3, s33
	v_lshlrev_b64 v[1:2], 4, v[1:2]
	v_add_co_u32_e64 v1, s[2:3], s24, v1
	v_addc_co_u32_e64 v2, s[2:3], v3, v2, s[2:3]
	global_load_dwordx4 v[1:4], v[1:2], off
	s_waitcnt vmcnt(0)
	ds_write2_b64 v15, v[1:2], v[3:4] offset1:1
.LBB6_7:                                ;   in Loop: Header=BB6_5 Depth=1
	s_or_b64 exec, exec, s[38:39]
	v_ashrrev_i32_e32 v1, 31, v19
	v_mul_lo_u32 v3, s13, v19
	v_mul_lo_u32 v4, s12, v1
	v_mad_u64_u32 v[1:2], s[2:3], s12, v19, 0
	v_add_u32_e32 v20, s26, v19
	s_movk_i32 s43, 0x1ff
	v_add3_u32 v2, v2, v4, v3
	v_lshlrev_b64 v[1:2], 4, v[1:2]
	s_movk_i32 s44, 0x7ff0
	v_add_co_u32_e64 v21, s[2:3], s34, v1
	v_addc_co_u32_e64 v22, s[2:3], v18, v2, s[2:3]
	s_xor_b64 s[38:39], vcc, -1
	s_waitcnt lgkmcnt(0)
	s_barrier
	s_branch .LBB6_10
.LBB6_8:                                ;   in Loop: Header=BB6_10 Depth=2
	s_or_b64 exec, exec, s[2:3]
	s_add_i32 s43, s43, -1
	s_add_i32 s44, s44, -16
	s_cmp_eq_u32 s43, -1
	s_cselect_b64 s[2:3], -1, 0
.LBB6_9:                                ;   in Loop: Header=BB6_10 Depth=2
	s_and_b64 vcc, exec, s[2:3]
	s_cbranch_vccnz .LBB6_19
.LBB6_10:                               ;   Parent Loop BB6_5 Depth=1
                                        ; =>  This Inner Loop Header: Depth=2
	s_add_i32 s45, s27, s43
	s_addk_i32 s45, 0xfe01
	s_cmp_lt_i32 s45, 0
	s_mov_b64 s[2:3], -1
	s_cbranch_scc1 .LBB6_9
; %bb.11:                               ;   in Loop: Header=BB6_10 Depth=2
	v_add_u32_e32 v13, s43, v16
	v_cmp_eq_u32_e32 vcc, 0, v13
	s_and_b64 s[40:41], s[22:23], vcc
	s_and_saveexec_b64 s[2:3], s[40:41]
	s_cbranch_execz .LBB6_17
; %bb.12:                               ;   in Loop: Header=BB6_10 Depth=2
	s_mul_i32 s40, s13, s45
	s_mul_hi_u32 s41, s12, s45
	s_add_i32 s41, s41, s40
	s_mul_i32 s40, s12, s45
	s_lshl_b64 s[40:41], s[40:41], 4
	s_add_u32 s40, s34, s40
	s_addc_u32 s41, s35, s41
	global_load_dwordx4 v[5:8], v14, s[40:41]
	ds_read_b128 v[1:4], v15
	s_mov_b64 s[40:41], -1
                                        ; implicit-def: $vgpr9_vgpr10
	s_waitcnt vmcnt(0)
	v_cmp_ngt_f64_e64 s[46:47], |v[5:6]|, |v[7:8]|
	s_and_b64 vcc, exec, s[46:47]
	s_cbranch_vccz .LBB6_14
; %bb.13:                               ;   in Loop: Header=BB6_10 Depth=2
	v_div_scale_f64 v[9:10], s[40:41], -v[7:8], -v[7:8], v[5:6]
	v_rcp_f64_e32 v[11:12], v[9:10]
	v_fma_f64 v[23:24], -v[9:10], v[11:12], 1.0
	v_fma_f64 v[11:12], v[11:12], v[23:24], v[11:12]
	v_div_scale_f64 v[23:24], vcc, v[5:6], -v[7:8], v[5:6]
	v_fma_f64 v[25:26], -v[9:10], v[11:12], 1.0
	v_fma_f64 v[11:12], v[11:12], v[25:26], v[11:12]
	v_mul_f64 v[25:26], v[23:24], v[11:12]
	v_fma_f64 v[9:10], -v[9:10], v[25:26], v[23:24]
	v_div_fmas_f64 v[9:10], v[9:10], v[11:12], v[25:26]
	v_div_fixup_f64 v[9:10], v[9:10], -v[7:8], v[5:6]
	v_fma_f64 v[11:12], v[5:6], v[9:10], -v[7:8]
	v_div_scale_f64 v[23:24], s[40:41], v[11:12], v[11:12], 1.0
	s_mov_b64 s[40:41], 0
	v_rcp_f64_e32 v[25:26], v[23:24]
	v_fma_f64 v[27:28], -v[23:24], v[25:26], 1.0
	v_fma_f64 v[25:26], v[25:26], v[27:28], v[25:26]
	v_div_scale_f64 v[27:28], vcc, 1.0, v[11:12], 1.0
	v_fma_f64 v[29:30], -v[23:24], v[25:26], 1.0
	v_fma_f64 v[25:26], v[25:26], v[29:30], v[25:26]
	v_mul_f64 v[29:30], v[27:28], v[25:26]
	v_fma_f64 v[23:24], -v[23:24], v[29:30], v[27:28]
	v_div_fmas_f64 v[23:24], v[23:24], v[25:26], v[29:30]
	s_waitcnt lgkmcnt(0)
	v_fma_f64 v[25:26], v[9:10], v[1:2], v[3:4]
	v_div_fixup_f64 v[11:12], v[23:24], v[11:12], 1.0
	v_fma_f64 v[23:24], v[9:10], v[3:4], -v[1:2]
	v_mul_f64 v[9:10], v[25:26], v[11:12]
	v_mul_f64 v[11:12], v[11:12], v[23:24]
.LBB6_14:                               ;   in Loop: Header=BB6_10 Depth=2
	s_andn2_b64 vcc, exec, s[40:41]
	s_cbranch_vccnz .LBB6_16
; %bb.15:                               ;   in Loop: Header=BB6_10 Depth=2
	v_div_scale_f64 v[9:10], s[40:41], v[5:6], v[5:6], -v[7:8]
	v_rcp_f64_e32 v[11:12], v[9:10]
	v_fma_f64 v[23:24], -v[9:10], v[11:12], 1.0
	v_fma_f64 v[11:12], v[11:12], v[23:24], v[11:12]
	v_div_scale_f64 v[23:24], vcc, -v[7:8], v[5:6], -v[7:8]
	v_fma_f64 v[25:26], -v[9:10], v[11:12], 1.0
	v_fma_f64 v[11:12], v[11:12], v[25:26], v[11:12]
	v_mul_f64 v[25:26], v[23:24], v[11:12]
	v_fma_f64 v[9:10], -v[9:10], v[25:26], v[23:24]
	v_div_fmas_f64 v[9:10], v[9:10], v[11:12], v[25:26]
	v_div_fixup_f64 v[9:10], v[9:10], v[5:6], -v[7:8]
	v_fma_f64 v[5:6], -v[7:8], v[9:10], v[5:6]
	v_div_scale_f64 v[7:8], s[40:41], v[5:6], v[5:6], 1.0
	v_rcp_f64_e32 v[11:12], v[7:8]
	v_fma_f64 v[23:24], -v[7:8], v[11:12], 1.0
	v_fma_f64 v[11:12], v[11:12], v[23:24], v[11:12]
	v_div_scale_f64 v[23:24], vcc, 1.0, v[5:6], 1.0
	v_fma_f64 v[25:26], -v[7:8], v[11:12], 1.0
	v_fma_f64 v[11:12], v[11:12], v[25:26], v[11:12]
	v_mul_f64 v[25:26], v[23:24], v[11:12]
	v_fma_f64 v[7:8], -v[7:8], v[25:26], v[23:24]
	v_div_fmas_f64 v[7:8], v[7:8], v[11:12], v[25:26]
	s_waitcnt lgkmcnt(0)
	v_fma_f64 v[11:12], v[9:10], v[3:4], v[1:2]
	v_fma_f64 v[1:2], -v[9:10], v[1:2], v[3:4]
	v_div_fixup_f64 v[5:6], v[7:8], v[5:6], 1.0
	v_mul_f64 v[9:10], v[5:6], v[11:12]
	v_mul_f64 v[11:12], v[1:2], v[5:6]
.LBB6_16:                               ;   in Loop: Header=BB6_10 Depth=2
	ds_write_b128 v15, v[9:12]
.LBB6_17:                               ;   in Loop: Header=BB6_10 Depth=2
	s_or_b64 exec, exec, s[2:3]
	v_cmp_gt_u32_e32 vcc, s43, v0
	v_cmp_le_i32_e64 s[2:3], s45, v20
	s_and_b64 s[40:41], s[38:39], vcc
	s_and_b64 s[40:41], s[40:41], s[2:3]
	s_waitcnt lgkmcnt(0)
	s_barrier
	s_and_saveexec_b64 s[2:3], s[40:41]
	s_cbranch_execz .LBB6_8
; %bb.18:                               ;   in Loop: Header=BB6_10 Depth=2
	v_lshlrev_b64 v[1:2], 4, v[13:14]
	v_mov_b32_e32 v5, s44
	v_add_co_u32_e32 v1, vcc, v21, v1
	v_addc_co_u32_e32 v2, vcc, v22, v2, vcc
	global_load_dwordx4 v[1:4], v[1:2], off
	ds_read_b128 v[5:8], v5
	s_waitcnt vmcnt(0) lgkmcnt(0)
	v_mul_f64 v[9:10], v[3:4], v[7:8]
	v_mul_f64 v[3:4], v[3:4], v[5:6]
	v_fma_f64 v[5:6], v[1:2], v[5:6], v[9:10]
	v_fma_f64 v[7:8], v[1:2], v[7:8], -v[3:4]
	ds_read_b128 v[1:4], v15
	s_waitcnt lgkmcnt(0)
	v_add_f64 v[1:2], v[1:2], -v[5:6]
	v_add_f64 v[3:4], v[3:4], -v[7:8]
	ds_write_b128 v15, v[1:4]
	s_branch .LBB6_8
.LBB6_19:                               ;   in Loop: Header=BB6_5 Depth=1
	s_add_i32 s49, s42, 0xfffffe00
	s_cmp_lt_i32 s42, 1
	s_cselect_b64 s[2:3], -1, 0
	s_and_b64 vcc, exec, s[2:3]
	s_waitcnt lgkmcnt(0)
	s_barrier
	s_cbranch_vccnz .LBB6_39
; %bb.20:                               ;   in Loop: Header=BB6_5 Depth=1
	v_mad_i64_i32 v[1:2], s[38:39], v17, -16, s[16:17]
	s_mov_b64 s[38:39], 0
	v_mov_b32_e32 v9, v17
	v_mov_b32_e32 v10, v0
	s_mov_b32 s50, s49
                                        ; implicit-def: $sgpr40_sgpr41
	s_branch .LBB6_23
.LBB6_21:                               ;   in Loop: Header=BB6_23 Depth=2
	v_mad_u64_u32 v[7:8], s[44:45], s20, v11, 0
	s_add_i32 s46, s50, 0xfffffe00
	s_cmp_lt_i32 s50, 1
	v_mad_u64_u32 v[11:12], s[44:45], s21, v11, v[8:9]
	v_mov_b32_e32 v12, s33
	s_cselect_b64 s[44:45], -1, 0
	v_mov_b32_e32 v8, v11
	v_lshlrev_b64 v[7:8], 4, v[7:8]
	s_andn2_b64 s[40:41], s[40:41], exec
	v_add_co_u32_e32 v11, vcc, s24, v7
	v_addc_co_u32_e32 v12, vcc, v12, v8, vcc
	global_load_dwordx4 v[20:23], v[11:12], off
	v_add_co_u32_e32 v1, vcc, 0x2000, v1
	s_and_b64 s[44:45], s[44:45], exec
	v_add_u32_e32 v9, 0xfffffe00, v9
	v_addc_co_u32_e32 v2, vcc, 0, v2, vcc
	s_or_b64 s[40:41], s[40:41], s[44:45]
	s_mov_b32 s50, s46
	s_waitcnt vmcnt(0)
	v_add_f64 v[5:6], v[20:21], -v[5:6]
	v_add_f64 v[7:8], v[22:23], -v[3:4]
	global_store_dwordx4 v[11:12], v[5:8], off
.LBB6_22:                               ;   in Loop: Header=BB6_23 Depth=2
	s_or_b64 exec, exec, s[42:43]
	s_and_b64 s[42:43], exec, s[40:41]
	s_or_b64 s[38:39], s[42:43], s[38:39]
	s_andn2_b64 exec, exec, s[38:39]
	s_cbranch_execz .LBB6_38
.LBB6_23:                               ;   Parent Loop BB6_5 Depth=1
                                        ; =>  This Loop Header: Depth=2
                                        ;       Child Loop BB6_26 Depth 3
	v_add_u32_e32 v11, s50, v0
	v_cmp_lt_i32_e32 vcc, -1, v11
	s_or_b64 s[40:41], s[40:41], exec
	s_and_saveexec_b64 s[42:43], vcc
	s_cbranch_execz .LBB6_22
; %bb.24:                               ;   in Loop: Header=BB6_23 Depth=2
	v_mad_u64_u32 v[7:8], s[44:45], s18, v9, v[1:2]
	v_add_u32_e32 v12, s26, v11
	v_add_u32_e32 v13, 0xfffffdff, v10
	v_mov_b32_e32 v3, v8
	v_mad_u64_u32 v[5:6], s[44:45], s19, v9, v[3:4]
	v_mov_b32_e32 v3, 0
	v_add_u32_e32 v10, 0xfffffe00, v10
	v_mov_b32_e32 v8, v5
	v_mov_b32_e32 v5, 0
	;; [unrolled: 1-line block ×3, first 2 shown]
	s_mov_b32 s51, 0
	v_mov_b32_e32 v6, 0
	s_movk_i32 s52, 0x6000
	s_branch .LBB6_26
.LBB6_25:                               ;   in Loop: Header=BB6_26 Depth=3
	s_or_b64 exec, exec, s[44:45]
	s_add_i32 s51, s51, 2
	s_add_i32 s52, s52, 32
	v_add_co_u32_e32 v7, vcc, 32, v7
	s_cmpk_eq_i32 s51, 0x200
	v_addc_co_u32_e32 v8, vcc, 0, v8, vcc
	s_cbranch_scc1 .LBB6_21
.LBB6_26:                               ;   Parent Loop BB6_5 Depth=1
                                        ;     Parent Loop BB6_23 Depth=2
                                        ; =>    This Inner Loop Header: Depth=3
	v_cmp_ne_u32_e32 vcc, s51, v10
	s_add_i32 s53, s48, s51
	s_or_b64 s[44:45], s[22:23], vcc
	s_and_saveexec_b64 s[46:47], s[44:45]
	s_xor_b64 s[44:45], exec, s[46:47]
	s_cbranch_execz .LBB6_30
; %bb.27:                               ;   in Loop: Header=BB6_26 Depth=3
	s_add_i32 s46, s53, 0xfffffe00
	v_cmp_le_i32_e32 vcc, s46, v12
	s_and_saveexec_b64 s[46:47], vcc
	s_cbranch_execz .LBB6_29
; %bb.28:                               ;   in Loop: Header=BB6_26 Depth=3
	global_load_dwordx4 v[20:23], v[7:8], off offset:-16
	v_mov_b32_e32 v24, s52
	ds_read_b128 v[24:27], v24
	s_waitcnt vmcnt(0) lgkmcnt(0)
	v_mul_f64 v[28:29], v[22:23], v[26:27]
	v_mul_f64 v[22:23], v[22:23], v[24:25]
	v_fma_f64 v[24:25], v[20:21], v[24:25], v[28:29]
	v_fma_f64 v[20:21], v[20:21], v[26:27], -v[22:23]
	v_add_f64 v[5:6], v[5:6], v[24:25]
	v_add_f64 v[3:4], v[3:4], v[20:21]
.LBB6_29:                               ;   in Loop: Header=BB6_26 Depth=3
	s_or_b64 exec, exec, s[46:47]
.LBB6_30:                               ;   in Loop: Header=BB6_26 Depth=3
	s_andn2_saveexec_b64 s[44:45], s[44:45]
	s_cbranch_execz .LBB6_32
; %bb.31:                               ;   in Loop: Header=BB6_26 Depth=3
	v_mov_b32_e32 v20, s52
	ds_read_b128 v[20:23], v20
	s_waitcnt lgkmcnt(0)
	v_add_f64 v[5:6], v[5:6], v[20:21]
	v_add_f64 v[3:4], v[3:4], v[22:23]
.LBB6_32:                               ;   in Loop: Header=BB6_26 Depth=3
	s_or_b64 exec, exec, s[44:45]
	v_cmp_ne_u32_e32 vcc, s51, v13
	s_or_b64 s[44:45], s[22:23], vcc
	s_and_saveexec_b64 s[46:47], s[44:45]
	s_xor_b64 s[44:45], exec, s[46:47]
	s_cbranch_execz .LBB6_36
; %bb.33:                               ;   in Loop: Header=BB6_26 Depth=3
	s_addk_i32 s53, 0xfe01
	v_cmp_le_i32_e32 vcc, s53, v12
	s_and_saveexec_b64 s[46:47], vcc
	s_cbranch_execz .LBB6_35
; %bb.34:                               ;   in Loop: Header=BB6_26 Depth=3
	global_load_dwordx4 v[20:23], v[7:8], off
	v_mov_b32_e32 v24, s52
	ds_read_b128 v[24:27], v24 offset:16
	s_waitcnt vmcnt(0) lgkmcnt(0)
	v_mul_f64 v[28:29], v[22:23], v[26:27]
	v_mul_f64 v[22:23], v[22:23], v[24:25]
	v_fma_f64 v[24:25], v[20:21], v[24:25], v[28:29]
	v_fma_f64 v[20:21], v[20:21], v[26:27], -v[22:23]
	v_add_f64 v[5:6], v[5:6], v[24:25]
	v_add_f64 v[3:4], v[3:4], v[20:21]
.LBB6_35:                               ;   in Loop: Header=BB6_26 Depth=3
	s_or_b64 exec, exec, s[46:47]
.LBB6_36:                               ;   in Loop: Header=BB6_26 Depth=3
	s_andn2_saveexec_b64 s[44:45], s[44:45]
	s_cbranch_execz .LBB6_25
; %bb.37:                               ;   in Loop: Header=BB6_26 Depth=3
	v_mov_b32_e32 v20, s52
	ds_read_b128 v[20:23], v20 offset:16
	s_waitcnt lgkmcnt(0)
	v_add_f64 v[5:6], v[5:6], v[20:21]
	v_add_f64 v[3:4], v[3:4], v[22:23]
	s_branch .LBB6_25
.LBB6_38:                               ;   in Loop: Header=BB6_5 Depth=1
	s_or_b64 exec, exec, s[38:39]
.LBB6_39:                               ;   in Loop: Header=BB6_5 Depth=1
	s_and_saveexec_b64 s[38:39], s[0:1]
	s_cbranch_execz .LBB6_4
; %bb.40:                               ;   in Loop: Header=BB6_5 Depth=1
	v_mad_u64_u32 v[5:6], s[0:1], s20, v19, 0
	v_mov_b32_e32 v1, v6
	v_mad_u64_u32 v[6:7], s[0:1], s21, v19, v[1:2]
	ds_read2_b64 v[1:4], v15 offset1:1
	v_mov_b32_e32 v7, s33
	v_lshlrev_b64 v[5:6], 4, v[5:6]
	v_add_co_u32_e32 v5, vcc, s24, v5
	v_addc_co_u32_e32 v6, vcc, v7, v6, vcc
	s_waitcnt lgkmcnt(0)
	global_store_dwordx4 v[5:6], v[1:4], off
	s_branch .LBB6_4
.LBB6_41:
	s_mov_b64 s[0:1], 0
.LBB6_42:
	s_andn2_b64 vcc, exec, s[0:1]
	s_cbranch_vccnz .LBB6_82
; %bb.43:
	s_andn2_b64 vcc, exec, s[6:7]
	s_cbranch_vccnz .LBB6_82
; %bb.44:
	s_ashr_i32 s27, s26, 31
	s_lshl_b64 s[16:17], s[12:13], 4
	s_add_u32 s18, s16, -16
	s_addc_u32 s22, s17, -1
	s_lshl_b64 s[0:1], s[26:27], 4
	s_add_u32 s2, s8, s0
	s_addc_u32 s3, s9, s1
	s_add_u32 s2, s2, s30
	s_addc_u32 s3, s3, s31
	;; [unrolled: 2-line block ×3, first 2 shown]
	v_mov_b32_e32 v1, s2
	v_mov_b32_e32 v2, s3
	v_mad_u64_u32 v[1:2], s[18:19], s18, v0, v[1:2]
	v_mov_b32_e32 v3, 0x2000
	v_lshl_or_b32 v21, v0, 4, v3
	v_mad_u64_u32 v[2:3], s[18:19], s22, v0, v[2:3]
	v_add_co_u32_e32 v13, vcc, 8, v1
	s_lshl_b64 s[18:19], s[12:13], 13
	v_or_b32_e32 v22, 0x200, v0
	v_addc_co_u32_e32 v14, vcc, 0, v2, vcc
	s_add_u32 s27, s28, s30
	v_mad_u64_u32 v[1:2], s[22:23], s12, v22, 0
	s_addc_u32 s38, s29, s31
	s_add_u32 s0, s27, s0
	s_addc_u32 s22, s38, s1
	s_add_u32 s23, s8, s0
	v_mad_u64_u32 v[2:3], s[0:1], s13, v22, v[2:3]
	s_addc_u32 s0, s9, s22
	s_add_u32 s22, s23, 8
	v_lshlrev_b64 v[1:2], 4, v[1:2]
	s_addc_u32 s23, s0, 0
	v_mov_b32_e32 v3, s3
	v_add_co_u32_e32 v1, vcc, s2, v1
	s_add_u32 s27, s18, 0x2000
	v_addc_co_u32_e32 v2, vcc, v3, v2, vcc
	s_addc_u32 s50, s19, 0
	v_add_co_u32_e32 v15, vcc, 16, v1
	s_add_u32 s51, s18, 0xffffe000
	v_addc_co_u32_e32 v16, vcc, 0, v2, vcc
	s_addc_u32 s52, s19, -1
	s_mov_b32 s53, 0
	s_xor_b64 s[38:39], s[4:5], -1
	s_branch .LBB6_46
.LBB6_45:                               ;   in Loop: Header=BB6_46 Depth=1
	s_or_b64 exec, exec, s[40:41]
	v_mov_b32_e32 v1, s19
	v_add_co_u32_e32 v13, vcc, s18, v13
	v_addc_co_u32_e32 v14, vcc, v14, v1, vcc
	v_mov_b32_e32 v1, s50
	v_add_co_u32_e32 v15, vcc, s27, v15
	s_add_u32 s22, s22, s18
	v_addc_co_u32_e32 v16, vcc, v16, v1, vcc
	s_addc_u32 s23, s23, s19
	v_add_u32_e32 v22, 0x200, v22
	s_and_b64 vcc, exec, s[2:3]
	s_mov_b32 s53, s54
	s_waitcnt vmcnt(0)
	s_barrier
	s_cbranch_vccnz .LBB6_82
.LBB6_46:                               ; =>This Loop Header: Depth=1
                                        ;     Child Loop BB6_51 Depth 2
                                        ;     Child Loop BB6_64 Depth 2
                                        ;       Child Loop BB6_67 Depth 3
	v_add_u32_e32 v23, s53, v0
	v_cmp_le_i32_e32 vcc, s25, v23
	v_cmp_gt_i32_e64 s[0:1], s25, v23
	s_and_saveexec_b64 s[40:41], s[0:1]
	s_cbranch_execz .LBB6_48
; %bb.47:                               ;   in Loop: Header=BB6_46 Depth=1
	v_mad_u64_u32 v[1:2], s[2:3], s20, v23, 0
	v_mad_u64_u32 v[2:3], s[2:3], s21, v23, v[2:3]
	v_mov_b32_e32 v3, s33
	v_lshlrev_b64 v[1:2], 4, v[1:2]
	v_add_co_u32_e64 v1, s[2:3], s24, v1
	v_addc_co_u32_e64 v2, s[2:3], v3, v2, s[2:3]
	global_load_dwordx4 v[1:4], v[1:2], off
	s_waitcnt vmcnt(0)
	ds_write2_b64 v21, v[1:2], v[3:4] offset1:1
.LBB6_48:                               ;   in Loop: Header=BB6_46 Depth=1
	s_or_b64 exec, exec, s[40:41]
	v_mov_b32_e32 v17, s22
	v_mov_b32_e32 v20, v14
	v_subrev_u32_e32 v24, s26, v23
	s_mov_b32 s44, 0
	s_movk_i32 s45, 0x2000
	v_mov_b32_e32 v18, s23
	s_xor_b64 s[40:41], vcc, -1
	v_mov_b32_e32 v19, v13
	s_waitcnt lgkmcnt(0)
	s_barrier
	s_branch .LBB6_51
.LBB6_49:                               ;   in Loop: Header=BB6_51 Depth=2
	s_or_b64 exec, exec, s[2:3]
	v_add_co_u32_e32 v19, vcc, 16, v19
	s_add_i32 s44, s44, 1
	s_add_i32 s45, s45, 16
	v_addc_co_u32_e32 v20, vcc, 0, v20, vcc
	v_mov_b32_e32 v1, s17
	v_add_co_u32_e32 v17, vcc, s16, v17
	s_cmpk_eq_i32 s44, 0x200
	v_addc_co_u32_e32 v18, vcc, v18, v1, vcc
	s_cselect_b64 s[2:3], -1, 0
.LBB6_50:                               ;   in Loop: Header=BB6_51 Depth=2
	s_and_b64 vcc, exec, s[2:3]
	s_cbranch_vccnz .LBB6_60
.LBB6_51:                               ;   Parent Loop BB6_46 Depth=1
                                        ; =>  This Inner Loop Header: Depth=2
	s_add_i32 s46, s53, s44
	s_cmp_ge_i32 s46, s25
	s_mov_b64 s[2:3], -1
	s_cbranch_scc1 .LBB6_50
; %bb.52:                               ;   in Loop: Header=BB6_51 Depth=2
	v_cmp_eq_u32_e32 vcc, s44, v0
	s_and_b64 s[42:43], s[38:39], vcc
	s_and_saveexec_b64 s[2:3], s[42:43]
	s_cbranch_execz .LBB6_58
; %bb.53:                               ;   in Loop: Header=BB6_51 Depth=2
	global_load_dwordx4 v[5:8], v[17:18], off offset:-8
	ds_read_b128 v[1:4], v21
	s_mov_b64 s[42:43], -1
                                        ; implicit-def: $vgpr9_vgpr10
	s_waitcnt vmcnt(0)
	v_cmp_ngt_f64_e64 s[48:49], |v[5:6]|, |v[7:8]|
	s_and_b64 vcc, exec, s[48:49]
	s_cbranch_vccz .LBB6_55
; %bb.54:                               ;   in Loop: Header=BB6_51 Depth=2
	v_div_scale_f64 v[9:10], s[42:43], -v[7:8], -v[7:8], v[5:6]
	v_rcp_f64_e32 v[11:12], v[9:10]
	v_fma_f64 v[25:26], -v[9:10], v[11:12], 1.0
	v_fma_f64 v[11:12], v[11:12], v[25:26], v[11:12]
	v_div_scale_f64 v[25:26], vcc, v[5:6], -v[7:8], v[5:6]
	v_fma_f64 v[27:28], -v[9:10], v[11:12], 1.0
	v_fma_f64 v[11:12], v[11:12], v[27:28], v[11:12]
	v_mul_f64 v[27:28], v[25:26], v[11:12]
	v_fma_f64 v[9:10], -v[9:10], v[27:28], v[25:26]
	v_div_fmas_f64 v[9:10], v[9:10], v[11:12], v[27:28]
	v_div_fixup_f64 v[9:10], v[9:10], -v[7:8], v[5:6]
	v_fma_f64 v[11:12], v[5:6], v[9:10], -v[7:8]
	v_div_scale_f64 v[25:26], s[42:43], v[11:12], v[11:12], 1.0
	s_mov_b64 s[42:43], 0
	v_rcp_f64_e32 v[27:28], v[25:26]
	v_fma_f64 v[29:30], -v[25:26], v[27:28], 1.0
	v_fma_f64 v[27:28], v[27:28], v[29:30], v[27:28]
	v_div_scale_f64 v[29:30], vcc, 1.0, v[11:12], 1.0
	v_fma_f64 v[31:32], -v[25:26], v[27:28], 1.0
	v_fma_f64 v[27:28], v[27:28], v[31:32], v[27:28]
	v_mul_f64 v[31:32], v[29:30], v[27:28]
	v_fma_f64 v[25:26], -v[25:26], v[31:32], v[29:30]
	v_div_fmas_f64 v[25:26], v[25:26], v[27:28], v[31:32]
	s_waitcnt lgkmcnt(0)
	v_fma_f64 v[27:28], v[9:10], v[1:2], v[3:4]
	v_div_fixup_f64 v[11:12], v[25:26], v[11:12], 1.0
	v_fma_f64 v[25:26], v[9:10], v[3:4], -v[1:2]
	v_mul_f64 v[9:10], v[27:28], v[11:12]
	v_mul_f64 v[11:12], v[11:12], v[25:26]
.LBB6_55:                               ;   in Loop: Header=BB6_51 Depth=2
	s_andn2_b64 vcc, exec, s[42:43]
	s_cbranch_vccnz .LBB6_57
; %bb.56:                               ;   in Loop: Header=BB6_51 Depth=2
	v_div_scale_f64 v[9:10], s[42:43], v[5:6], v[5:6], -v[7:8]
	v_rcp_f64_e32 v[11:12], v[9:10]
	v_fma_f64 v[25:26], -v[9:10], v[11:12], 1.0
	v_fma_f64 v[11:12], v[11:12], v[25:26], v[11:12]
	v_div_scale_f64 v[25:26], vcc, -v[7:8], v[5:6], -v[7:8]
	v_fma_f64 v[27:28], -v[9:10], v[11:12], 1.0
	v_fma_f64 v[11:12], v[11:12], v[27:28], v[11:12]
	v_mul_f64 v[27:28], v[25:26], v[11:12]
	v_fma_f64 v[9:10], -v[9:10], v[27:28], v[25:26]
	v_div_fmas_f64 v[9:10], v[9:10], v[11:12], v[27:28]
	v_div_fixup_f64 v[9:10], v[9:10], v[5:6], -v[7:8]
	v_fma_f64 v[5:6], -v[7:8], v[9:10], v[5:6]
	v_div_scale_f64 v[7:8], s[42:43], v[5:6], v[5:6], 1.0
	v_rcp_f64_e32 v[11:12], v[7:8]
	v_fma_f64 v[25:26], -v[7:8], v[11:12], 1.0
	v_fma_f64 v[11:12], v[11:12], v[25:26], v[11:12]
	v_div_scale_f64 v[25:26], vcc, 1.0, v[5:6], 1.0
	v_fma_f64 v[27:28], -v[7:8], v[11:12], 1.0
	v_fma_f64 v[11:12], v[11:12], v[27:28], v[11:12]
	v_mul_f64 v[27:28], v[25:26], v[11:12]
	v_fma_f64 v[7:8], -v[7:8], v[27:28], v[25:26]
	v_div_fmas_f64 v[7:8], v[7:8], v[11:12], v[27:28]
	s_waitcnt lgkmcnt(0)
	v_fma_f64 v[11:12], v[9:10], v[3:4], v[1:2]
	v_fma_f64 v[1:2], -v[9:10], v[1:2], v[3:4]
	v_div_fixup_f64 v[5:6], v[7:8], v[5:6], 1.0
	v_mul_f64 v[9:10], v[5:6], v[11:12]
	v_mul_f64 v[11:12], v[1:2], v[5:6]
.LBB6_57:                               ;   in Loop: Header=BB6_51 Depth=2
	ds_write_b128 v21, v[9:12]
.LBB6_58:                               ;   in Loop: Header=BB6_51 Depth=2
	s_or_b64 exec, exec, s[2:3]
	v_cmp_lt_u32_e32 vcc, s44, v0
	v_cmp_ge_i32_e64 s[2:3], s46, v24
	s_and_b64 s[42:43], s[40:41], vcc
	s_and_b64 s[42:43], s[42:43], s[2:3]
	s_waitcnt lgkmcnt(0)
	s_barrier
	s_and_saveexec_b64 s[2:3], s[42:43]
	s_cbranch_execz .LBB6_49
; %bb.59:                               ;   in Loop: Header=BB6_51 Depth=2
	global_load_dwordx4 v[1:4], v[19:20], off offset:-8
	v_mov_b32_e32 v5, s45
	ds_read_b128 v[5:8], v5
	s_waitcnt vmcnt(0) lgkmcnt(0)
	v_mul_f64 v[9:10], v[3:4], v[7:8]
	v_mul_f64 v[3:4], v[3:4], v[5:6]
	v_fma_f64 v[5:6], v[1:2], v[5:6], v[9:10]
	v_fma_f64 v[7:8], v[1:2], v[7:8], -v[3:4]
	ds_read_b128 v[1:4], v21
	s_waitcnt lgkmcnt(0)
	v_add_f64 v[1:2], v[1:2], -v[5:6]
	v_add_f64 v[3:4], v[3:4], -v[7:8]
	ds_write_b128 v21, v[1:4]
	s_branch .LBB6_49
.LBB6_60:                               ;   in Loop: Header=BB6_46 Depth=1
	s_add_i32 s54, s53, 0x200
	s_cmp_ge_i32 s54, s25
	s_cselect_b64 s[2:3], -1, 0
	s_and_b64 vcc, exec, s[2:3]
	s_waitcnt lgkmcnt(0)
	s_barrier
	s_cbranch_vccnz .LBB6_80
; %bb.61:                               ;   in Loop: Header=BB6_46 Depth=1
	v_mad_i64_i32 v[1:2], s[40:41], v22, -16, v[15:16]
	s_mov_b64 s[40:41], 0
	v_mov_b32_e32 v9, v0
	s_mov_b32 s55, s54
                                        ; implicit-def: $sgpr42_sgpr43
	s_branch .LBB6_64
.LBB6_62:                               ;   in Loop: Header=BB6_64 Depth=2
	v_mad_u64_u32 v[7:8], s[46:47], s20, v10, 0
	s_addk_i32 s55, 0x200
	s_cmp_ge_i32 s55, s25
	v_mad_u64_u32 v[10:11], s[46:47], s21, v10, v[8:9]
	v_mov_b32_e32 v11, s33
	s_cselect_b64 s[46:47], -1, 0
	v_mov_b32_e32 v8, v10
	v_lshlrev_b64 v[7:8], 4, v[7:8]
	v_mov_b32_e32 v12, s52
	v_add_co_u32_e32 v10, vcc, s24, v7
	v_addc_co_u32_e32 v11, vcc, v11, v8, vcc
	global_load_dwordx4 v[17:20], v[10:11], off
	v_add_co_u32_e32 v1, vcc, s51, v1
	s_andn2_b64 s[42:43], s[42:43], exec
	s_and_b64 s[46:47], s[46:47], exec
	v_addc_co_u32_e32 v2, vcc, v2, v12, vcc
	s_or_b64 s[42:43], s[42:43], s[46:47]
	s_waitcnt vmcnt(0)
	v_add_f64 v[5:6], v[17:18], -v[5:6]
	v_add_f64 v[7:8], v[19:20], -v[3:4]
	global_store_dwordx4 v[10:11], v[5:8], off
.LBB6_63:                               ;   in Loop: Header=BB6_64 Depth=2
	s_or_b64 exec, exec, s[44:45]
	s_and_b64 s[44:45], exec, s[42:43]
	s_or_b64 s[40:41], s[44:45], s[40:41]
	s_andn2_b64 exec, exec, s[40:41]
	s_cbranch_execz .LBB6_79
.LBB6_64:                               ;   Parent Loop BB6_46 Depth=1
                                        ; =>  This Loop Header: Depth=2
                                        ;       Child Loop BB6_67 Depth 3
	v_add_u32_e32 v10, s55, v0
	v_cmp_gt_i32_e32 vcc, s25, v10
	s_or_b64 s[42:43], s[42:43], exec
	s_and_saveexec_b64 s[44:45], vcc
	s_cbranch_execz .LBB6_63
; %bb.65:                               ;   in Loop: Header=BB6_64 Depth=2
	v_mov_b32_e32 v3, 0
	v_mov_b32_e32 v5, 0
	v_mov_b32_e32 v8, v2
	v_subrev_u32_e32 v11, s26, v10
	v_add_u32_e32 v12, 0x1ff, v9
	v_add_u32_e32 v9, 0x200, v9
	v_mov_b32_e32 v4, 0
	s_mov_b32 s56, 0
	s_movk_i32 s57, 0x2000
	v_mov_b32_e32 v6, 0
	v_mov_b32_e32 v7, v1
	s_branch .LBB6_67
.LBB6_66:                               ;   in Loop: Header=BB6_67 Depth=3
	s_or_b64 exec, exec, s[46:47]
	s_add_i32 s56, s56, 2
	s_add_i32 s57, s57, 32
	v_add_co_u32_e32 v7, vcc, 32, v7
	s_cmpk_eq_i32 s56, 0x200
	v_addc_co_u32_e32 v8, vcc, 0, v8, vcc
	s_cbranch_scc1 .LBB6_62
.LBB6_67:                               ;   Parent Loop BB6_46 Depth=1
                                        ;     Parent Loop BB6_64 Depth=2
                                        ; =>    This Inner Loop Header: Depth=3
	v_cmp_ne_u32_e32 vcc, s56, v9
	s_add_i32 s58, s53, s56
	s_or_b64 s[46:47], s[38:39], vcc
	s_and_saveexec_b64 s[48:49], s[46:47]
	s_xor_b64 s[46:47], exec, s[48:49]
	s_cbranch_execz .LBB6_71
; %bb.68:                               ;   in Loop: Header=BB6_67 Depth=3
	s_cmp_lt_i32 s58, s25
	s_cselect_b64 s[48:49], -1, 0
	v_cmp_ge_i32_e32 vcc, s58, v11
	s_and_b64 s[60:61], s[48:49], vcc
	s_and_saveexec_b64 s[48:49], s[60:61]
	s_cbranch_execz .LBB6_70
; %bb.69:                               ;   in Loop: Header=BB6_67 Depth=3
	global_load_dwordx4 v[17:20], v[7:8], off offset:-16
	v_mov_b32_e32 v24, s57
	ds_read_b128 v[24:27], v24
	s_waitcnt vmcnt(0) lgkmcnt(0)
	v_mul_f64 v[28:29], v[19:20], v[26:27]
	v_mul_f64 v[19:20], v[19:20], v[24:25]
	v_fma_f64 v[24:25], v[17:18], v[24:25], v[28:29]
	v_fma_f64 v[17:18], v[17:18], v[26:27], -v[19:20]
	v_add_f64 v[5:6], v[5:6], v[24:25]
	v_add_f64 v[3:4], v[3:4], v[17:18]
.LBB6_70:                               ;   in Loop: Header=BB6_67 Depth=3
	s_or_b64 exec, exec, s[48:49]
.LBB6_71:                               ;   in Loop: Header=BB6_67 Depth=3
	s_andn2_saveexec_b64 s[46:47], s[46:47]
	s_cbranch_execz .LBB6_73
; %bb.72:                               ;   in Loop: Header=BB6_67 Depth=3
	v_mov_b32_e32 v17, s57
	ds_read_b128 v[17:20], v17
	s_waitcnt lgkmcnt(0)
	v_add_f64 v[5:6], v[5:6], v[17:18]
	v_add_f64 v[3:4], v[3:4], v[19:20]
.LBB6_73:                               ;   in Loop: Header=BB6_67 Depth=3
	s_or_b64 exec, exec, s[46:47]
	v_cmp_ne_u32_e32 vcc, s56, v12
	s_or_b64 s[46:47], s[38:39], vcc
	s_and_saveexec_b64 s[48:49], s[46:47]
	s_xor_b64 s[46:47], exec, s[48:49]
	s_cbranch_execz .LBB6_77
; %bb.74:                               ;   in Loop: Header=BB6_67 Depth=3
	s_add_i32 s58, s58, 1
	s_cmp_lt_i32 s58, s25
	s_cselect_b64 s[48:49], -1, 0
	v_cmp_ge_i32_e32 vcc, s58, v11
	s_and_b64 s[58:59], s[48:49], vcc
	s_and_saveexec_b64 s[48:49], s[58:59]
	s_cbranch_execz .LBB6_76
; %bb.75:                               ;   in Loop: Header=BB6_67 Depth=3
	global_load_dwordx4 v[17:20], v[7:8], off
	v_mov_b32_e32 v24, s57
	ds_read_b128 v[24:27], v24 offset:16
	s_waitcnt vmcnt(0) lgkmcnt(0)
	v_mul_f64 v[28:29], v[19:20], v[26:27]
	v_mul_f64 v[19:20], v[19:20], v[24:25]
	v_fma_f64 v[24:25], v[17:18], v[24:25], v[28:29]
	v_fma_f64 v[17:18], v[17:18], v[26:27], -v[19:20]
	v_add_f64 v[5:6], v[5:6], v[24:25]
	v_add_f64 v[3:4], v[3:4], v[17:18]
.LBB6_76:                               ;   in Loop: Header=BB6_67 Depth=3
	s_or_b64 exec, exec, s[48:49]
.LBB6_77:                               ;   in Loop: Header=BB6_67 Depth=3
	s_andn2_saveexec_b64 s[46:47], s[46:47]
	s_cbranch_execz .LBB6_66
; %bb.78:                               ;   in Loop: Header=BB6_67 Depth=3
	v_mov_b32_e32 v17, s57
	ds_read_b128 v[17:20], v17 offset:16
	s_waitcnt lgkmcnt(0)
	v_add_f64 v[5:6], v[5:6], v[17:18]
	v_add_f64 v[3:4], v[3:4], v[19:20]
	s_branch .LBB6_66
.LBB6_79:                               ;   in Loop: Header=BB6_46 Depth=1
	s_or_b64 exec, exec, s[40:41]
.LBB6_80:                               ;   in Loop: Header=BB6_46 Depth=1
	s_and_saveexec_b64 s[40:41], s[0:1]
	s_cbranch_execz .LBB6_45
; %bb.81:                               ;   in Loop: Header=BB6_46 Depth=1
	v_mad_u64_u32 v[5:6], s[0:1], s20, v23, 0
	v_mov_b32_e32 v1, v6
	v_mad_u64_u32 v[6:7], s[0:1], s21, v23, v[1:2]
	ds_read2_b64 v[1:4], v21 offset1:1
	v_mov_b32_e32 v7, s33
	v_lshlrev_b64 v[5:6], 4, v[5:6]
	v_add_co_u32_e32 v5, vcc, s24, v5
	v_addc_co_u32_e32 v6, vcc, v7, v6, vcc
	s_waitcnt lgkmcnt(0)
	global_store_dwordx4 v[5:6], v[1:4], off
	s_branch .LBB6_45
.LBB6_82:
	s_mov_b64 s[0:1], 0
.LBB6_83:
	s_andn2_b64 vcc, exec, s[0:1]
	s_cbranch_vccnz .LBB6_165
; %bb.84:
	s_mov_b64 s[0:1], -1
	s_and_b64 vcc, exec, s[36:37]
	s_cbranch_vccz .LBB6_125
; %bb.85:
	s_andn2_b64 vcc, exec, s[6:7]
	s_cbranch_vccnz .LBB6_124
; %bb.86:
	s_lshl_b64 s[16:17], s[12:13], 13
	s_lshl_b64 s[18:19], s[12:13], 4
	s_add_u32 s2, s28, s30
	s_addc_u32 s3, s29, s31
	s_add_u32 s0, s8, s2
	s_addc_u32 s1, s9, s3
	;; [unrolled: 2-line block ×3, first 2 shown]
	s_lshl_b64 s[0:1], s[12:13], 5
	s_add_u32 s2, s2, s18
	s_addc_u32 s3, s3, s19
	s_add_u32 s2, s8, s2
	s_addc_u32 s3, s9, s3
	s_add_u32 s36, s2, -8
	s_addc_u32 s37, s3, -1
	s_add_u32 s27, s0, 0xffffffe0
	v_lshlrev_b32_e32 v15, 4, v0
	v_or_b32_e32 v16, 0x200, v0
	s_addc_u32 s60, s1, -1
	s_mov_b32 s61, 0
	s_mov_b64 s[38:39], 0
	s_xor_b64 s[40:41], s[4:5], -1
	v_mov_b32_e32 v14, 0
	s_branch .LBB6_88
.LBB6_87:                               ;   in Loop: Header=BB6_88 Depth=1
	s_or_b64 exec, exec, s[42:43]
	s_add_u32 s34, s34, s16
	s_addc_u32 s35, s35, s17
	s_add_u32 s22, s22, s16
	s_addc_u32 s23, s23, s17
	s_add_u32 s38, s38, 0xfffffe00
	s_addc_u32 s39, s39, -1
	s_add_u32 s36, s36, s16
	v_add_u32_e32 v16, 0x200, v16
	s_addc_u32 s37, s37, s17
	s_and_b64 vcc, exec, s[2:3]
	s_mov_b32 s61, s62
	s_waitcnt vmcnt(0)
	s_barrier
	s_cbranch_vccnz .LBB6_124
.LBB6_88:                               ; =>This Loop Header: Depth=1
                                        ;     Child Loop BB6_92 Depth 2
                                        ;     Child Loop BB6_106 Depth 2
                                        ;       Child Loop BB6_109 Depth 3
	v_add_u32_e32 v17, s61, v0
	v_cmp_le_i32_e32 vcc, s25, v17
	v_cmp_gt_i32_e64 s[0:1], s25, v17
	s_and_saveexec_b64 s[42:43], s[0:1]
	s_cbranch_execz .LBB6_90
; %bb.89:                               ;   in Loop: Header=BB6_88 Depth=1
	v_mad_u64_u32 v[1:2], s[2:3], s20, v17, 0
	v_mad_u64_u32 v[2:3], s[2:3], s21, v17, v[2:3]
	v_mov_b32_e32 v3, s33
	v_lshlrev_b64 v[1:2], 4, v[1:2]
	v_add_co_u32_e64 v1, s[2:3], s24, v1
	v_addc_co_u32_e64 v2, s[2:3], v3, v2, s[2:3]
	global_load_dwordx4 v[1:4], v[1:2], off
	s_waitcnt vmcnt(0)
	ds_write2_b64 v15, v[1:2], v[3:4] offset1:1
.LBB6_90:                               ;   in Loop: Header=BB6_88 Depth=1
	s_or_b64 exec, exec, s[42:43]
	v_subrev_u32_e32 v18, s26, v17
	s_mov_b32 s50, 0
	s_xor_b64 s[42:43], vcc, -1
	s_mov_b64 s[44:45], s[22:23]
	s_mov_b64 s[46:47], s[34:35]
	v_mov_b32_e32 v13, v0
	s_mov_b32 s51, 0
	s_waitcnt lgkmcnt(0)
	s_barrier
	s_branch .LBB6_92
.LBB6_91:                               ;   in Loop: Header=BB6_92 Depth=2
                                        ; implicit-def: $sgpr51
                                        ; implicit-def: $sgpr50
                                        ; implicit-def: $sgpr46_sgpr47
                                        ; implicit-def: $sgpr44_sgpr45
	s_cbranch_execnz .LBB6_102
.LBB6_92:                               ;   Parent Loop BB6_88 Depth=1
                                        ; =>  This Inner Loop Header: Depth=2
	s_add_i32 s52, s61, s51
	s_cmp_ge_i32 s52, s25
	s_cbranch_scc1 .LBB6_91
; %bb.93:                               ;   in Loop: Header=BB6_92 Depth=2
	v_cmp_eq_u32_e32 vcc, s51, v0
	s_and_b64 s[48:49], s[40:41], vcc
	s_and_saveexec_b64 s[2:3], s[48:49]
	s_cbranch_execz .LBB6_99
; %bb.94:                               ;   in Loop: Header=BB6_92 Depth=2
	global_load_dwordx4 v[5:8], v14, s[46:47]
	ds_read_b128 v[1:4], v15
	s_mov_b64 s[48:49], -1
                                        ; implicit-def: $vgpr9_vgpr10
	s_waitcnt vmcnt(0)
	v_cmp_ngt_f64_e64 s[54:55], |v[5:6]|, |v[7:8]|
	s_and_b64 vcc, exec, s[54:55]
	s_cbranch_vccz .LBB6_96
; %bb.95:                               ;   in Loop: Header=BB6_92 Depth=2
	v_div_scale_f64 v[9:10], s[48:49], v[7:8], v[7:8], v[5:6]
	v_rcp_f64_e32 v[11:12], v[9:10]
	v_fma_f64 v[19:20], -v[9:10], v[11:12], 1.0
	v_fma_f64 v[11:12], v[11:12], v[19:20], v[11:12]
	v_div_scale_f64 v[19:20], vcc, v[5:6], v[7:8], v[5:6]
	v_fma_f64 v[21:22], -v[9:10], v[11:12], 1.0
	v_fma_f64 v[11:12], v[11:12], v[21:22], v[11:12]
	v_mul_f64 v[21:22], v[19:20], v[11:12]
	v_fma_f64 v[9:10], -v[9:10], v[21:22], v[19:20]
	v_div_fmas_f64 v[9:10], v[9:10], v[11:12], v[21:22]
	v_div_fixup_f64 v[9:10], v[9:10], v[7:8], v[5:6]
	v_fma_f64 v[11:12], v[5:6], v[9:10], v[7:8]
	v_div_scale_f64 v[19:20], s[48:49], v[11:12], v[11:12], 1.0
	s_mov_b64 s[48:49], 0
	v_rcp_f64_e32 v[21:22], v[19:20]
	v_fma_f64 v[23:24], -v[19:20], v[21:22], 1.0
	v_fma_f64 v[21:22], v[21:22], v[23:24], v[21:22]
	v_div_scale_f64 v[23:24], vcc, 1.0, v[11:12], 1.0
	v_fma_f64 v[25:26], -v[19:20], v[21:22], 1.0
	v_fma_f64 v[21:22], v[21:22], v[25:26], v[21:22]
	v_mul_f64 v[25:26], v[23:24], v[21:22]
	v_fma_f64 v[19:20], -v[19:20], v[25:26], v[23:24]
	v_div_fmas_f64 v[19:20], v[19:20], v[21:22], v[25:26]
	s_waitcnt lgkmcnt(0)
	v_fma_f64 v[21:22], v[9:10], v[1:2], v[3:4]
	v_div_fixup_f64 v[11:12], v[19:20], v[11:12], 1.0
	v_fma_f64 v[19:20], v[9:10], v[3:4], -v[1:2]
	v_mul_f64 v[9:10], v[21:22], v[11:12]
	v_mul_f64 v[11:12], v[11:12], v[19:20]
.LBB6_96:                               ;   in Loop: Header=BB6_92 Depth=2
	s_andn2_b64 vcc, exec, s[48:49]
	s_cbranch_vccnz .LBB6_98
; %bb.97:                               ;   in Loop: Header=BB6_92 Depth=2
	v_div_scale_f64 v[9:10], s[48:49], v[5:6], v[5:6], v[7:8]
	v_rcp_f64_e32 v[11:12], v[9:10]
	v_fma_f64 v[19:20], -v[9:10], v[11:12], 1.0
	v_fma_f64 v[11:12], v[11:12], v[19:20], v[11:12]
	v_div_scale_f64 v[19:20], vcc, v[7:8], v[5:6], v[7:8]
	v_fma_f64 v[21:22], -v[9:10], v[11:12], 1.0
	v_fma_f64 v[11:12], v[11:12], v[21:22], v[11:12]
	v_mul_f64 v[21:22], v[19:20], v[11:12]
	v_fma_f64 v[9:10], -v[9:10], v[21:22], v[19:20]
	v_div_fmas_f64 v[9:10], v[9:10], v[11:12], v[21:22]
	v_div_fixup_f64 v[9:10], v[9:10], v[5:6], v[7:8]
	v_fma_f64 v[5:6], v[7:8], v[9:10], v[5:6]
	v_div_scale_f64 v[7:8], s[48:49], v[5:6], v[5:6], 1.0
	v_rcp_f64_e32 v[11:12], v[7:8]
	v_fma_f64 v[19:20], -v[7:8], v[11:12], 1.0
	v_fma_f64 v[11:12], v[11:12], v[19:20], v[11:12]
	v_div_scale_f64 v[19:20], vcc, 1.0, v[5:6], 1.0
	v_fma_f64 v[21:22], -v[7:8], v[11:12], 1.0
	v_fma_f64 v[11:12], v[11:12], v[21:22], v[11:12]
	v_mul_f64 v[21:22], v[19:20], v[11:12]
	v_fma_f64 v[7:8], -v[7:8], v[21:22], v[19:20]
	v_div_fmas_f64 v[7:8], v[7:8], v[11:12], v[21:22]
	s_waitcnt lgkmcnt(0)
	v_fma_f64 v[11:12], v[9:10], v[3:4], v[1:2]
	v_fma_f64 v[1:2], -v[9:10], v[1:2], v[3:4]
	v_div_fixup_f64 v[5:6], v[7:8], v[5:6], 1.0
	v_mul_f64 v[9:10], v[5:6], v[11:12]
	v_mul_f64 v[11:12], v[1:2], v[5:6]
.LBB6_98:                               ;   in Loop: Header=BB6_92 Depth=2
	ds_write_b128 v15, v[9:12]
.LBB6_99:                               ;   in Loop: Header=BB6_92 Depth=2
	s_or_b64 exec, exec, s[2:3]
	v_cmp_lt_u32_e32 vcc, s51, v0
	v_cmp_ge_i32_e64 s[2:3], s52, v18
	s_and_b64 s[48:49], s[42:43], vcc
	s_and_b64 s[48:49], s[48:49], s[2:3]
	s_waitcnt lgkmcnt(0)
	s_barrier
	s_and_saveexec_b64 s[2:3], s[48:49]
	s_cbranch_execz .LBB6_101
; %bb.100:                              ;   in Loop: Header=BB6_92 Depth=2
	v_lshlrev_b64 v[1:2], 4, v[13:14]
	v_mov_b32_e32 v3, s45
	v_add_co_u32_e32 v1, vcc, s44, v1
	v_addc_co_u32_e32 v2, vcc, v3, v2, vcc
	global_load_dwordx4 v[1:4], v[1:2], off offset:-8
	v_mov_b32_e32 v5, s50
	ds_read_b128 v[5:8], v5
	s_waitcnt vmcnt(0) lgkmcnt(0)
	v_mul_f64 v[9:10], v[3:4], v[7:8]
	v_mul_f64 v[7:8], v[1:2], v[7:8]
	v_fma_f64 v[9:10], v[1:2], v[5:6], -v[9:10]
	v_fma_f64 v[5:6], v[3:4], v[5:6], v[7:8]
	ds_read_b128 v[1:4], v15
	s_waitcnt lgkmcnt(0)
	v_add_f64 v[1:2], v[1:2], -v[9:10]
	v_add_f64 v[3:4], v[3:4], -v[5:6]
	ds_write_b128 v15, v[1:4]
.LBB6_101:                              ;   in Loop: Header=BB6_92 Depth=2
	s_or_b64 exec, exec, s[2:3]
	s_add_i32 s51, s51, 1
	s_add_i32 s50, s50, 16
	s_add_u32 s46, s46, s18
	s_addc_u32 s47, s47, s19
	s_add_u32 s44, s44, s18
	s_addc_u32 s45, s45, s19
	s_cmpk_eq_i32 s51, 0x200
	v_add_u32_e32 v13, -1, v13
	s_cselect_b64 s[2:3], -1, 0
	s_and_b64 vcc, exec, s[2:3]
	s_cbranch_vccz .LBB6_92
.LBB6_102:                              ;   in Loop: Header=BB6_88 Depth=1
	s_add_i32 s62, s61, 0x200
	s_cmp_ge_i32 s62, s25
	s_cselect_b64 s[2:3], -1, 0
	s_and_b64 vcc, exec, s[2:3]
	s_waitcnt lgkmcnt(0)
	s_barrier
	s_cbranch_vccnz .LBB6_122
; %bb.103:                              ;   in Loop: Header=BB6_88 Depth=1
	v_ashrrev_i32_e32 v2, 31, v16
	v_mov_b32_e32 v3, s39
	v_add_co_u32_e32 v1, vcc, s38, v16
	v_addc_co_u32_e32 v2, vcc, v3, v2, vcc
	v_lshlrev_b64 v[1:2], 4, v[1:2]
	s_mov_b64 s[42:43], 0
	s_mov_b64 s[44:45], s[22:23]
	v_mov_b32_e32 v7, v0
	s_mov_b64 s[48:49], s[36:37]
	s_mov_b32 s63, s62
                                        ; implicit-def: $sgpr46_sgpr47
	s_branch .LBB6_106
.LBB6_104:                              ;   in Loop: Header=BB6_106 Depth=2
	v_mad_u64_u32 v[9:10], s[52:53], s20, v8, 0
	s_addk_i32 s63, 0x200
	s_add_u32 s48, s48, 0x2000
	v_mad_u64_u32 v[10:11], s[52:53], s21, v8, v[10:11]
	v_mov_b32_e32 v11, s33
	s_addc_u32 s49, s49, 0
	v_lshlrev_b64 v[8:9], 4, v[9:10]
	s_add_u32 s44, s44, 0x2000
	v_add_co_u32_e32 v12, vcc, s24, v8
	v_addc_co_u32_e32 v13, vcc, v11, v9, vcc
	global_load_dwordx4 v[8:11], v[12:13], off
	s_addc_u32 s45, s45, 0
	s_cmp_ge_i32 s63, s25
	s_cselect_b64 s[52:53], -1, 0
	s_andn2_b64 s[46:47], s[46:47], exec
	s_and_b64 s[52:53], s[52:53], exec
	s_or_b64 s[46:47], s[46:47], s[52:53]
	s_waitcnt vmcnt(0)
	v_add_f64 v[8:9], v[8:9], -v[5:6]
	v_add_f64 v[10:11], v[10:11], -v[3:4]
	global_store_dwordx4 v[12:13], v[8:11], off
.LBB6_105:                              ;   in Loop: Header=BB6_106 Depth=2
	s_or_b64 exec, exec, s[50:51]
	s_and_b64 s[50:51], exec, s[46:47]
	s_or_b64 s[42:43], s[50:51], s[42:43]
	s_andn2_b64 exec, exec, s[42:43]
	s_cbranch_execz .LBB6_121
.LBB6_106:                              ;   Parent Loop BB6_88 Depth=1
                                        ; =>  This Loop Header: Depth=2
                                        ;       Child Loop BB6_109 Depth 3
	v_add_u32_e32 v8, s63, v0
	v_cmp_gt_i32_e32 vcc, s25, v8
	s_or_b64 s[46:47], s[46:47], exec
	s_and_saveexec_b64 s[50:51], vcc
	s_cbranch_execz .LBB6_105
; %bb.107:                              ;   in Loop: Header=BB6_106 Depth=2
	v_mov_b32_e32 v3, 0
	v_mov_b32_e32 v5, 0
	v_subrev_u32_e32 v9, s26, v8
	v_add_u32_e32 v10, 0x1ff, v7
	v_add_u32_e32 v7, 0x200, v7
	v_mov_b32_e32 v4, 0
	s_mov_b32 s64, 0
	s_mov_b64 s[52:53], s[44:45]
	s_mov_b64 s[54:55], s[48:49]
	v_mov_b32_e32 v6, 0
	s_mov_b32 s65, 0
	s_branch .LBB6_109
.LBB6_108:                              ;   in Loop: Header=BB6_109 Depth=3
	s_or_b64 exec, exec, s[56:57]
	s_add_i32 s65, s65, 2
	s_add_u32 s54, s54, s27
	s_addc_u32 s55, s55, s60
	s_add_i32 s64, s64, 32
	s_add_u32 s52, s52, s27
	s_addc_u32 s53, s53, s60
	s_cmpk_eq_i32 s65, 0x200
	s_cbranch_scc1 .LBB6_104
.LBB6_109:                              ;   Parent Loop BB6_88 Depth=1
                                        ;     Parent Loop BB6_106 Depth=2
                                        ; =>    This Inner Loop Header: Depth=3
	v_cmp_ne_u32_e32 vcc, s65, v7
	s_add_i32 s66, s61, s65
	s_or_b64 s[56:57], s[40:41], vcc
	s_and_saveexec_b64 s[58:59], s[56:57]
	s_xor_b64 s[56:57], exec, s[58:59]
	s_cbranch_execz .LBB6_113
; %bb.110:                              ;   in Loop: Header=BB6_109 Depth=3
	s_cmp_lt_i32 s66, s25
	s_cselect_b64 s[58:59], -1, 0
	v_cmp_ge_i32_e32 vcc, s66, v9
	s_and_b64 s[68:69], s[58:59], vcc
	s_and_saveexec_b64 s[58:59], s[68:69]
	s_cbranch_execz .LBB6_112
; %bb.111:                              ;   in Loop: Header=BB6_109 Depth=3
	v_mov_b32_e32 v12, s53
	v_add_co_u32_e32 v11, vcc, s52, v1
	v_addc_co_u32_e32 v12, vcc, v12, v2, vcc
	global_load_dwordx4 v[18:21], v[11:12], off offset:-8
	v_mov_b32_e32 v11, s64
	ds_read_b128 v[22:25], v11
	s_waitcnt vmcnt(0) lgkmcnt(0)
	v_mul_f64 v[11:12], v[20:21], v[24:25]
	v_mul_f64 v[24:25], v[18:19], v[24:25]
	v_fma_f64 v[11:12], v[18:19], v[22:23], -v[11:12]
	v_fma_f64 v[18:19], v[20:21], v[22:23], v[24:25]
	v_add_f64 v[5:6], v[5:6], v[11:12]
	v_add_f64 v[3:4], v[3:4], v[18:19]
.LBB6_112:                              ;   in Loop: Header=BB6_109 Depth=3
	s_or_b64 exec, exec, s[58:59]
.LBB6_113:                              ;   in Loop: Header=BB6_109 Depth=3
	s_andn2_saveexec_b64 s[56:57], s[56:57]
	s_cbranch_execz .LBB6_115
; %bb.114:                              ;   in Loop: Header=BB6_109 Depth=3
	v_mov_b32_e32 v11, s64
	ds_read_b128 v[18:21], v11
	s_waitcnt lgkmcnt(0)
	v_add_f64 v[5:6], v[5:6], v[18:19]
	v_add_f64 v[3:4], v[3:4], v[20:21]
.LBB6_115:                              ;   in Loop: Header=BB6_109 Depth=3
	s_or_b64 exec, exec, s[56:57]
	v_cmp_ne_u32_e32 vcc, s65, v10
	s_or_b64 s[56:57], s[40:41], vcc
	s_and_saveexec_b64 s[58:59], s[56:57]
	s_xor_b64 s[56:57], exec, s[58:59]
	s_cbranch_execz .LBB6_119
; %bb.116:                              ;   in Loop: Header=BB6_109 Depth=3
	s_add_i32 s66, s66, 1
	s_cmp_lt_i32 s66, s25
	s_cselect_b64 s[58:59], -1, 0
	v_cmp_ge_i32_e32 vcc, s66, v9
	s_and_b64 s[66:67], s[58:59], vcc
	s_and_saveexec_b64 s[58:59], s[66:67]
	s_cbranch_execz .LBB6_118
; %bb.117:                              ;   in Loop: Header=BB6_109 Depth=3
	v_mov_b32_e32 v12, s55
	v_add_co_u32_e32 v11, vcc, s54, v1
	v_addc_co_u32_e32 v12, vcc, v12, v2, vcc
	global_load_dwordx4 v[18:21], v[11:12], off offset:-8
	v_mov_b32_e32 v11, s64
	ds_read_b128 v[22:25], v11 offset:16
	s_waitcnt vmcnt(0) lgkmcnt(0)
	v_mul_f64 v[11:12], v[20:21], v[24:25]
	v_mul_f64 v[24:25], v[18:19], v[24:25]
	v_fma_f64 v[11:12], v[18:19], v[22:23], -v[11:12]
	v_fma_f64 v[18:19], v[20:21], v[22:23], v[24:25]
	v_add_f64 v[5:6], v[5:6], v[11:12]
	v_add_f64 v[3:4], v[3:4], v[18:19]
.LBB6_118:                              ;   in Loop: Header=BB6_109 Depth=3
	s_or_b64 exec, exec, s[58:59]
.LBB6_119:                              ;   in Loop: Header=BB6_109 Depth=3
	s_andn2_saveexec_b64 s[56:57], s[56:57]
	s_cbranch_execz .LBB6_108
; %bb.120:                              ;   in Loop: Header=BB6_109 Depth=3
	v_mov_b32_e32 v11, s64
	ds_read_b128 v[18:21], v11 offset:16
	s_waitcnt lgkmcnt(0)
	v_add_f64 v[5:6], v[5:6], v[18:19]
	v_add_f64 v[3:4], v[3:4], v[20:21]
	s_branch .LBB6_108
.LBB6_121:                              ;   in Loop: Header=BB6_88 Depth=1
	s_or_b64 exec, exec, s[42:43]
.LBB6_122:                              ;   in Loop: Header=BB6_88 Depth=1
	s_and_saveexec_b64 s[42:43], s[0:1]
	s_cbranch_execz .LBB6_87
; %bb.123:                              ;   in Loop: Header=BB6_88 Depth=1
	v_mad_u64_u32 v[5:6], s[0:1], s20, v17, 0
	v_mov_b32_e32 v1, v6
	v_mad_u64_u32 v[6:7], s[0:1], s21, v17, v[1:2]
	ds_read2_b64 v[1:4], v15 offset1:1
	v_mov_b32_e32 v7, s33
	v_lshlrev_b64 v[5:6], 4, v[5:6]
	v_add_co_u32_e32 v5, vcc, s24, v5
	v_addc_co_u32_e32 v6, vcc, v7, v6, vcc
	s_waitcnt lgkmcnt(0)
	global_store_dwordx4 v[5:6], v[1:4], off
	s_branch .LBB6_87
.LBB6_124:
	s_mov_b64 s[0:1], 0
.LBB6_125:
	s_andn2_b64 vcc, exec, s[0:1]
	s_cbranch_vccnz .LBB6_165
; %bb.126:
	s_andn2_b64 vcc, exec, s[6:7]
	s_cbranch_vccnz .LBB6_165
; %bb.127:
	s_add_i32 s34, s25, 0xfffffe00
	s_add_i32 s6, s25, -1
	s_add_u32 s2, s28, s30
	s_addc_u32 s3, s29, s31
	s_ashr_i32 s27, s26, 31
	s_lshl_b64 s[0:1], s[26:27], 4
	s_add_u32 s2, s2, s0
	s_addc_u32 s3, s3, s1
	s_ashr_i32 s7, s6, 31
	s_lshl_b64 s[0:1], s[6:7], 4
	s_sub_u32 s0, s2, s0
	s_subb_u32 s1, s3, s1
	s_add_u32 s16, s8, s0
	s_addc_u32 s17, s9, s1
	s_lshl_b64 s[18:19], s[12:13], 4
	s_add_u32 s7, s18, 16
	s_addc_u32 s42, s19, 0
	s_or_b32 s0, s0, 8
	s_add_u32 s43, s8, s0
	s_addc_u32 s44, s9, s1
	s_add_u32 s0, s10, s14
	s_addc_u32 s1, s11, s15
	;; [unrolled: 2-line block ×3, first 2 shown]
	s_ashr_i32 s3, s25, 31
	s_mov_b32 s2, s25
	s_lshl_b64 s[0:1], s[0:1], 4
	s_lshl_b64 s[2:3], s[2:3], 4
	s_sub_u32 s0, s0, s2
	s_subb_u32 s1, s1, s3
	s_add_u32 s0, s8, s0
	s_addc_u32 s1, s9, s1
	s_add_u32 s8, s0, 0x1ff8
	s_addc_u32 s9, s1, 0
	s_add_i32 s27, s25, 0xfffffe01
	s_add_u32 s10, s0, 0x1ff0
	s_addc_u32 s11, s1, 0
	s_add_u32 s45, s0, 0x2000
	v_mov_b32_e32 v1, 0x4000
	s_addc_u32 s46, s1, 0
	s_lshl_b64 s[0:1], s[12:13], 5
	v_lshl_or_b32 v18, v0, 4, v1
	v_add_u32_e32 v1, s25, v0
	s_add_u32 s47, s0, 0xffffffe0
	v_add_u32_e32 v13, 0xfffffe00, v1
	v_add_u32_e32 v19, 0xfffffc00, v1
	s_addc_u32 s48, s1, -1
	v_mov_b32_e32 v15, 0
	s_xor_b64 s[4:5], s[4:5], -1
	s_branch .LBB6_129
.LBB6_128:                              ;   in Loop: Header=BB6_129 Depth=1
	s_or_b64 exec, exec, s[12:13]
	s_addk_i32 s6, 0xfe00
	s_add_u32 s16, s16, 0x2000
	s_addc_u32 s17, s17, 0
	s_add_u32 s43, s43, 0x2000
	s_addc_u32 s44, s44, 0
	s_addk_i32 s25, 0xfe00
	s_add_u32 s8, s8, 0x2000
	s_addc_u32 s9, s9, 0
	s_addk_i32 s27, 0xfe00
	s_add_u32 s10, s10, 0x2000
	s_addc_u32 s11, s11, 0
	s_add_u32 s45, s45, 0x2000
	v_add_u32_e32 v13, 0xfffffe00, v13
	v_add_u32_e32 v19, 0xfffffe00, v19
	s_addc_u32 s46, s46, 0
	s_and_b64 vcc, exec, s[2:3]
	s_mov_b32 s34, s49
	s_waitcnt vmcnt(0)
	s_barrier
	s_cbranch_vccnz .LBB6_165
.LBB6_129:                              ; =>This Loop Header: Depth=1
                                        ;     Child Loop BB6_133 Depth 2
                                        ;     Child Loop BB6_147 Depth 2
                                        ;       Child Loop BB6_150 Depth 3
	v_add_u32_e32 v20, s34, v0
	v_cmp_gt_i32_e32 vcc, 0, v20
	v_cmp_lt_i32_e64 s[0:1], -1, v20
	s_and_saveexec_b64 s[12:13], s[0:1]
	s_cbranch_execz .LBB6_131
; %bb.130:                              ;   in Loop: Header=BB6_129 Depth=1
	v_mad_u64_u32 v[1:2], s[2:3], s20, v20, 0
	v_mad_u64_u32 v[2:3], s[2:3], s21, v20, v[2:3]
	v_mov_b32_e32 v3, s33
	v_lshlrev_b64 v[1:2], 4, v[1:2]
	v_add_co_u32_e64 v1, s[2:3], s24, v1
	v_addc_co_u32_e64 v2, s[2:3], v3, v2, s[2:3]
	global_load_dwordx4 v[1:4], v[1:2], off
	s_waitcnt vmcnt(0)
	ds_write2_b64 v18, v[1:2], v[3:4] offset1:1
.LBB6_131:                              ;   in Loop: Header=BB6_129 Depth=1
	s_or_b64 exec, exec, s[12:13]
	v_mov_b32_e32 v14, v15
	v_lshlrev_b64 v[1:2], 4, v[13:14]
	v_mov_b32_e32 v3, s44
	v_add_co_u32_e64 v16, s[2:3], s43, v1
	v_addc_co_u32_e64 v17, s[2:3], v3, v2, s[2:3]
	v_add_u32_e32 v14, s26, v20
	s_movk_i32 s28, 0x1ff
	s_movk_i32 s29, 0x5ff0
	s_xor_b64 s[12:13], vcc, -1
	s_mov_b32 s30, s6
	s_mov_b64 s[14:15], s[16:17]
	s_waitcnt lgkmcnt(0)
	s_barrier
	s_branch .LBB6_133
.LBB6_132:                              ;   in Loop: Header=BB6_133 Depth=2
                                        ; implicit-def: $sgpr28
                                        ; implicit-def: $sgpr29
                                        ; implicit-def: $sgpr14_sgpr15
                                        ; implicit-def: $sgpr30
                                        ; implicit-def: $vgpr16_vgpr17
	s_cbranch_execnz .LBB6_143
.LBB6_133:                              ;   Parent Loop BB6_129 Depth=1
                                        ; =>  This Inner Loop Header: Depth=2
	s_add_i32 s31, s6, s28
	s_addk_i32 s31, 0xfe01
	s_cmp_lt_i32 s31, 0
	s_cbranch_scc1 .LBB6_132
; %bb.134:                              ;   in Loop: Header=BB6_133 Depth=2
	v_cmp_eq_u32_e32 vcc, s28, v0
	s_and_b64 s[22:23], s[4:5], vcc
	s_and_saveexec_b64 s[2:3], s[22:23]
	s_cbranch_execz .LBB6_140
; %bb.135:                              ;   in Loop: Header=BB6_133 Depth=2
	s_mul_i32 s22, s42, s30
	s_mul_hi_u32 s23, s7, s30
	s_add_i32 s23, s23, s22
	s_mul_i32 s22, s7, s30
	s_add_u32 s22, s14, s22
	s_addc_u32 s23, s15, s23
	global_load_dwordx4 v[5:8], v15, s[22:23]
	ds_read_b128 v[1:4], v18
	s_mov_b64 s[22:23], -1
                                        ; implicit-def: $vgpr9_vgpr10
	s_waitcnt vmcnt(0)
	v_cmp_ngt_f64_e64 s[36:37], |v[5:6]|, |v[7:8]|
	s_and_b64 vcc, exec, s[36:37]
	s_cbranch_vccz .LBB6_137
; %bb.136:                              ;   in Loop: Header=BB6_133 Depth=2
	v_div_scale_f64 v[9:10], s[22:23], v[7:8], v[7:8], v[5:6]
	v_rcp_f64_e32 v[11:12], v[9:10]
	v_fma_f64 v[21:22], -v[9:10], v[11:12], 1.0
	v_fma_f64 v[11:12], v[11:12], v[21:22], v[11:12]
	v_div_scale_f64 v[21:22], vcc, v[5:6], v[7:8], v[5:6]
	v_fma_f64 v[23:24], -v[9:10], v[11:12], 1.0
	v_fma_f64 v[11:12], v[11:12], v[23:24], v[11:12]
	v_mul_f64 v[23:24], v[21:22], v[11:12]
	v_fma_f64 v[9:10], -v[9:10], v[23:24], v[21:22]
	v_div_fmas_f64 v[9:10], v[9:10], v[11:12], v[23:24]
	v_div_fixup_f64 v[9:10], v[9:10], v[7:8], v[5:6]
	v_fma_f64 v[11:12], v[5:6], v[9:10], v[7:8]
	v_div_scale_f64 v[21:22], s[22:23], v[11:12], v[11:12], 1.0
	s_mov_b64 s[22:23], 0
	v_rcp_f64_e32 v[23:24], v[21:22]
	v_fma_f64 v[25:26], -v[21:22], v[23:24], 1.0
	v_fma_f64 v[23:24], v[23:24], v[25:26], v[23:24]
	v_div_scale_f64 v[25:26], vcc, 1.0, v[11:12], 1.0
	v_fma_f64 v[27:28], -v[21:22], v[23:24], 1.0
	v_fma_f64 v[23:24], v[23:24], v[27:28], v[23:24]
	v_mul_f64 v[27:28], v[25:26], v[23:24]
	v_fma_f64 v[21:22], -v[21:22], v[27:28], v[25:26]
	v_div_fmas_f64 v[21:22], v[21:22], v[23:24], v[27:28]
	s_waitcnt lgkmcnt(0)
	v_fma_f64 v[23:24], v[9:10], v[1:2], v[3:4]
	v_div_fixup_f64 v[11:12], v[21:22], v[11:12], 1.0
	v_fma_f64 v[21:22], v[9:10], v[3:4], -v[1:2]
	v_mul_f64 v[9:10], v[23:24], v[11:12]
	v_mul_f64 v[11:12], v[11:12], v[21:22]
.LBB6_137:                              ;   in Loop: Header=BB6_133 Depth=2
	s_andn2_b64 vcc, exec, s[22:23]
	s_cbranch_vccnz .LBB6_139
; %bb.138:                              ;   in Loop: Header=BB6_133 Depth=2
	v_div_scale_f64 v[9:10], s[22:23], v[5:6], v[5:6], v[7:8]
	v_rcp_f64_e32 v[11:12], v[9:10]
	v_fma_f64 v[21:22], -v[9:10], v[11:12], 1.0
	v_fma_f64 v[11:12], v[11:12], v[21:22], v[11:12]
	v_div_scale_f64 v[21:22], vcc, v[7:8], v[5:6], v[7:8]
	v_fma_f64 v[23:24], -v[9:10], v[11:12], 1.0
	v_fma_f64 v[11:12], v[11:12], v[23:24], v[11:12]
	v_mul_f64 v[23:24], v[21:22], v[11:12]
	v_fma_f64 v[9:10], -v[9:10], v[23:24], v[21:22]
	v_div_fmas_f64 v[9:10], v[9:10], v[11:12], v[23:24]
	v_div_fixup_f64 v[9:10], v[9:10], v[5:6], v[7:8]
	v_fma_f64 v[5:6], v[7:8], v[9:10], v[5:6]
	v_div_scale_f64 v[7:8], s[22:23], v[5:6], v[5:6], 1.0
	v_rcp_f64_e32 v[11:12], v[7:8]
	v_fma_f64 v[21:22], -v[7:8], v[11:12], 1.0
	v_fma_f64 v[11:12], v[11:12], v[21:22], v[11:12]
	v_div_scale_f64 v[21:22], vcc, 1.0, v[5:6], 1.0
	v_fma_f64 v[23:24], -v[7:8], v[11:12], 1.0
	v_fma_f64 v[11:12], v[11:12], v[23:24], v[11:12]
	v_mul_f64 v[23:24], v[21:22], v[11:12]
	v_fma_f64 v[7:8], -v[7:8], v[23:24], v[21:22]
	v_div_fmas_f64 v[7:8], v[7:8], v[11:12], v[23:24]
	s_waitcnt lgkmcnt(0)
	v_fma_f64 v[11:12], v[9:10], v[3:4], v[1:2]
	v_fma_f64 v[1:2], -v[9:10], v[1:2], v[3:4]
	v_div_fixup_f64 v[5:6], v[7:8], v[5:6], 1.0
	v_mul_f64 v[9:10], v[5:6], v[11:12]
	v_mul_f64 v[11:12], v[1:2], v[5:6]
.LBB6_139:                              ;   in Loop: Header=BB6_133 Depth=2
	ds_write_b128 v18, v[9:12]
.LBB6_140:                              ;   in Loop: Header=BB6_133 Depth=2
	s_or_b64 exec, exec, s[2:3]
	v_cmp_gt_u32_e32 vcc, s28, v0
	v_cmp_le_i32_e64 s[2:3], s31, v14
	s_and_b64 s[22:23], s[12:13], vcc
	s_and_b64 s[22:23], s[22:23], s[2:3]
	s_waitcnt lgkmcnt(0)
	s_barrier
	s_and_saveexec_b64 s[2:3], s[22:23]
	s_cbranch_execz .LBB6_142
; %bb.141:                              ;   in Loop: Header=BB6_133 Depth=2
	v_mov_b32_e32 v1, s30
	v_mad_u64_u32 v[1:2], s[22:23], s18, v1, v[16:17]
	s_mul_i32 s22, s19, s30
	v_mov_b32_e32 v5, s29
	v_add_u32_e32 v2, s22, v2
	global_load_dwordx4 v[1:4], v[1:2], off offset:-8
	ds_read_b128 v[5:8], v5
	s_waitcnt vmcnt(0) lgkmcnt(0)
	v_mul_f64 v[9:10], v[3:4], v[7:8]
	v_mul_f64 v[7:8], v[1:2], v[7:8]
	v_fma_f64 v[9:10], v[1:2], v[5:6], -v[9:10]
	v_fma_f64 v[5:6], v[3:4], v[5:6], v[7:8]
	ds_read_b128 v[1:4], v18
	s_waitcnt lgkmcnt(0)
	v_add_f64 v[1:2], v[1:2], -v[9:10]
	v_add_f64 v[3:4], v[3:4], -v[5:6]
	ds_write_b128 v18, v[1:4]
.LBB6_142:                              ;   in Loop: Header=BB6_133 Depth=2
	s_or_b64 exec, exec, s[2:3]
	s_add_i32 s28, s28, -1
	s_add_i32 s29, s29, -16
	s_add_u32 s14, s14, 16
	s_addc_u32 s15, s15, 0
	s_add_i32 s30, s30, -1
	v_add_co_u32_e32 v16, vcc, 16, v16
	s_cmp_eq_u32 s28, -1
	v_addc_co_u32_e32 v17, vcc, 0, v17, vcc
	s_cselect_b64 s[2:3], -1, 0
	s_and_b64 vcc, exec, s[2:3]
	s_cbranch_vccz .LBB6_133
.LBB6_143:                              ;   in Loop: Header=BB6_129 Depth=1
	s_add_i32 s49, s34, 0xfffffe00
	s_cmp_lt_i32 s34, 1
	s_cselect_b64 s[2:3], -1, 0
	s_and_b64 vcc, exec, s[2:3]
	s_waitcnt lgkmcnt(0)
	s_barrier
	s_cbranch_vccnz .LBB6_163
; %bb.144:                              ;   in Loop: Header=BB6_129 Depth=1
	s_mul_i32 s12, s19, s34
	s_mul_hi_u32 s13, s18, s34
	s_add_i32 s13, s13, s12
	s_mul_i32 s12, s18, s34
	s_add_u32 s12, s45, s12
	s_addc_u32 s13, s46, s13
	s_mov_b64 s[14:15], 0
	v_mov_b32_e32 v14, v19
	v_mov_b32_e32 v7, v0
	s_mov_b32 s50, s49
                                        ; implicit-def: $sgpr22_sgpr23
	s_branch .LBB6_147
.LBB6_145:                              ;   in Loop: Header=BB6_147 Depth=2
	v_mad_u64_u32 v[5:6], s[30:31], s20, v8, 0
	s_add_i32 s34, s50, 0xfffffe00
	s_cmp_lt_i32 s50, 1
	v_mad_u64_u32 v[8:9], s[30:31], s21, v8, v[6:7]
	v_mov_b32_e32 v9, s33
	s_cselect_b64 s[30:31], -1, 0
	v_mov_b32_e32 v6, v8
	v_lshlrev_b64 v[5:6], 4, v[5:6]
	s_andn2_b64 s[22:23], s[22:23], exec
	v_add_co_u32_e32 v16, vcc, s24, v5
	v_addc_co_u32_e32 v17, vcc, v9, v6, vcc
	global_load_dwordx4 v[8:11], v[16:17], off
	s_and_b64 s[30:31], s[30:31], exec
	v_add_u32_e32 v14, 0xfffffe00, v14
	s_or_b64 s[22:23], s[22:23], s[30:31]
	s_mov_b32 s50, s34
	s_waitcnt vmcnt(0)
	v_add_f64 v[3:4], v[8:9], -v[3:4]
	v_add_f64 v[5:6], v[10:11], -v[1:2]
	global_store_dwordx4 v[16:17], v[3:6], off
.LBB6_146:                              ;   in Loop: Header=BB6_147 Depth=2
	s_or_b64 exec, exec, s[28:29]
	s_and_b64 s[28:29], exec, s[22:23]
	s_or_b64 s[14:15], s[28:29], s[14:15]
	s_andn2_b64 exec, exec, s[14:15]
	s_cbranch_execz .LBB6_162
.LBB6_147:                              ;   Parent Loop BB6_129 Depth=1
                                        ; =>  This Loop Header: Depth=2
                                        ;       Child Loop BB6_150 Depth 3
	v_add_u32_e32 v8, s50, v0
	v_cmp_lt_i32_e32 vcc, -1, v8
	s_or_b64 s[22:23], s[22:23], exec
	s_and_saveexec_b64 s[28:29], vcc
	s_cbranch_execz .LBB6_146
; %bb.148:                              ;   in Loop: Header=BB6_147 Depth=2
	v_lshlrev_b64 v[5:6], 4, v[14:15]
	v_mov_b32_e32 v1, 0
	v_mov_b32_e32 v3, 0
	v_add_u32_e32 v9, s26, v8
	v_add_u32_e32 v10, 0xfffffdff, v7
	;; [unrolled: 1-line block ×3, first 2 shown]
	v_mov_b32_e32 v2, 0
	s_mov_b32 s51, 0
	s_movk_i32 s52, 0x4000
	s_mov_b64 s[30:31], s[12:13]
	s_mov_b64 s[34:35], s[10:11]
	s_mov_b32 s53, s27
	v_mov_b32_e32 v4, 0
	s_mov_b64 s[36:37], s[8:9]
	s_branch .LBB6_150
.LBB6_149:                              ;   in Loop: Header=BB6_150 Depth=3
	s_or_b64 exec, exec, s[38:39]
	s_add_i32 s51, s51, 2
	s_add_i32 s52, s52, 32
	s_add_u32 s36, s36, 0xffffffe0
	s_addc_u32 s37, s37, -1
	s_add_i32 s53, s53, 2
	s_add_u32 s34, s34, 0xffffffe0
	s_addc_u32 s35, s35, -1
	s_add_u32 s30, s30, s47
	s_addc_u32 s31, s31, s48
	s_cmpk_eq_i32 s51, 0x200
	s_cbranch_scc1 .LBB6_145
.LBB6_150:                              ;   Parent Loop BB6_129 Depth=1
                                        ;     Parent Loop BB6_147 Depth=2
                                        ; =>    This Inner Loop Header: Depth=3
	v_cmp_ne_u32_e32 vcc, s51, v7
	s_add_i32 s54, s25, s51
	s_or_b64 s[38:39], s[4:5], vcc
	s_and_saveexec_b64 s[40:41], s[38:39]
	s_xor_b64 s[38:39], exec, s[40:41]
	s_cbranch_execz .LBB6_154
; %bb.151:                              ;   in Loop: Header=BB6_150 Depth=3
	s_add_i32 s40, s54, 0xfffffe00
	v_cmp_le_i32_e32 vcc, s40, v9
	s_and_saveexec_b64 s[40:41], vcc
	s_cbranch_execz .LBB6_153
; %bb.152:                              ;   in Loop: Header=BB6_150 Depth=3
	v_mov_b32_e32 v12, s31
	v_add_co_u32_e32 v11, vcc, s30, v5
	v_addc_co_u32_e32 v12, vcc, v12, v6, vcc
	global_load_dwordx4 v[21:24], v[11:12], off
	v_mov_b32_e32 v11, s52
	ds_read_b128 v[25:28], v11
	s_waitcnt vmcnt(0) lgkmcnt(0)
	v_mul_f64 v[11:12], v[23:24], v[27:28]
	v_mul_f64 v[16:17], v[21:22], v[27:28]
	v_fma_f64 v[11:12], v[21:22], v[25:26], -v[11:12]
	v_fma_f64 v[16:17], v[23:24], v[25:26], v[16:17]
	v_add_f64 v[3:4], v[3:4], v[11:12]
	v_add_f64 v[1:2], v[1:2], v[16:17]
.LBB6_153:                              ;   in Loop: Header=BB6_150 Depth=3
	s_or_b64 exec, exec, s[40:41]
.LBB6_154:                              ;   in Loop: Header=BB6_150 Depth=3
	s_andn2_saveexec_b64 s[38:39], s[38:39]
	s_cbranch_execz .LBB6_156
; %bb.155:                              ;   in Loop: Header=BB6_150 Depth=3
	v_mov_b32_e32 v11, s52
	ds_read_b128 v[21:24], v11
	s_waitcnt lgkmcnt(0)
	v_add_f64 v[3:4], v[3:4], v[21:22]
	v_add_f64 v[1:2], v[1:2], v[23:24]
.LBB6_156:                              ;   in Loop: Header=BB6_150 Depth=3
	s_or_b64 exec, exec, s[38:39]
	v_cmp_ne_u32_e32 vcc, s51, v10
	s_or_b64 s[38:39], s[4:5], vcc
	s_and_saveexec_b64 s[40:41], s[38:39]
	s_xor_b64 s[38:39], exec, s[40:41]
	s_cbranch_execz .LBB6_160
; %bb.157:                              ;   in Loop: Header=BB6_150 Depth=3
	s_addk_i32 s54, 0xfe01
	v_cmp_le_i32_e32 vcc, s54, v9
	s_and_saveexec_b64 s[40:41], vcc
	s_cbranch_execz .LBB6_159
; %bb.158:                              ;   in Loop: Header=BB6_150 Depth=3
	s_mul_i32 s54, s19, s53
	s_mul_hi_u32 s55, s18, s53
	s_add_i32 s55, s55, s54
	s_mul_i32 s54, s18, s53
	s_add_u32 s56, s36, s54
	s_addc_u32 s57, s37, s55
	s_add_u32 s54, s34, s54
	s_addc_u32 s55, s35, s55
	v_mov_b32_e32 v12, s55
	v_add_co_u32_e32 v11, vcc, s54, v5
	v_addc_co_u32_e32 v12, vcc, v12, v6, vcc
	v_mov_b32_e32 v17, s57
	v_add_co_u32_e32 v16, vcc, s56, v5
	v_addc_co_u32_e32 v17, vcc, v17, v6, vcc
	global_load_dwordx2 v[16:17], v[16:17], off
	s_nop 0
	global_load_dwordx2 v[11:12], v[11:12], off
	v_mov_b32_e32 v21, s52
	ds_read_b128 v[21:24], v21 offset:16
	s_waitcnt vmcnt(1) lgkmcnt(0)
	v_mul_f64 v[25:26], v[16:17], v[23:24]
	s_waitcnt vmcnt(0)
	v_mul_f64 v[23:24], v[11:12], v[23:24]
	v_fma_f64 v[11:12], v[11:12], v[21:22], -v[25:26]
	v_fma_f64 v[16:17], v[16:17], v[21:22], v[23:24]
	v_add_f64 v[3:4], v[3:4], v[11:12]
	v_add_f64 v[1:2], v[1:2], v[16:17]
.LBB6_159:                              ;   in Loop: Header=BB6_150 Depth=3
	s_or_b64 exec, exec, s[40:41]
.LBB6_160:                              ;   in Loop: Header=BB6_150 Depth=3
	s_andn2_saveexec_b64 s[38:39], s[38:39]
	s_cbranch_execz .LBB6_149
; %bb.161:                              ;   in Loop: Header=BB6_150 Depth=3
	v_mov_b32_e32 v11, s52
	ds_read_b128 v[21:24], v11 offset:16
	s_waitcnt lgkmcnt(0)
	v_add_f64 v[3:4], v[3:4], v[21:22]
	v_add_f64 v[1:2], v[1:2], v[23:24]
	s_branch .LBB6_149
.LBB6_162:                              ;   in Loop: Header=BB6_129 Depth=1
	s_or_b64 exec, exec, s[14:15]
.LBB6_163:                              ;   in Loop: Header=BB6_129 Depth=1
	s_and_saveexec_b64 s[12:13], s[0:1]
	s_cbranch_execz .LBB6_128
; %bb.164:                              ;   in Loop: Header=BB6_129 Depth=1
	v_mad_u64_u32 v[5:6], s[0:1], s20, v20, 0
	v_mov_b32_e32 v1, v6
	v_mad_u64_u32 v[6:7], s[0:1], s21, v20, v[1:2]
	ds_read2_b64 v[1:4], v18 offset1:1
	v_mov_b32_e32 v7, s33
	v_lshlrev_b64 v[5:6], 4, v[5:6]
	v_add_co_u32_e32 v5, vcc, s24, v5
	v_addc_co_u32_e32 v6, vcc, v7, v6, vcc
	s_waitcnt lgkmcnt(0)
	global_store_dwordx4 v[5:6], v[1:4], off
	s_branch .LBB6_128
.LBB6_165:
	s_endpgm
	.section	.rodata,"a",@progbits
	.p2align	6, 0x0
	.amdhsa_kernel _ZL19rocblas_tbsv_kernelILb1ELi512EPK19rocblas_complex_numIdEPS1_Ev18rocblas_operation_bbiiT1_lllT2_lll
		.amdhsa_group_segment_fixed_size 32768
		.amdhsa_private_segment_fixed_size 0
		.amdhsa_kernarg_size 80
		.amdhsa_user_sgpr_count 6
		.amdhsa_user_sgpr_private_segment_buffer 1
		.amdhsa_user_sgpr_dispatch_ptr 0
		.amdhsa_user_sgpr_queue_ptr 0
		.amdhsa_user_sgpr_kernarg_segment_ptr 1
		.amdhsa_user_sgpr_dispatch_id 0
		.amdhsa_user_sgpr_flat_scratch_init 0
		.amdhsa_user_sgpr_private_segment_size 0
		.amdhsa_uses_dynamic_stack 0
		.amdhsa_system_sgpr_private_segment_wavefront_offset 0
		.amdhsa_system_sgpr_workgroup_id_x 1
		.amdhsa_system_sgpr_workgroup_id_y 0
		.amdhsa_system_sgpr_workgroup_id_z 0
		.amdhsa_system_sgpr_workgroup_info 0
		.amdhsa_system_vgpr_workitem_id 0
		.amdhsa_next_free_vgpr 49
		.amdhsa_next_free_sgpr 98
		.amdhsa_reserve_vcc 1
		.amdhsa_reserve_flat_scratch 0
		.amdhsa_float_round_mode_32 0
		.amdhsa_float_round_mode_16_64 0
		.amdhsa_float_denorm_mode_32 3
		.amdhsa_float_denorm_mode_16_64 3
		.amdhsa_dx10_clamp 1
		.amdhsa_ieee_mode 1
		.amdhsa_fp16_overflow 0
		.amdhsa_exception_fp_ieee_invalid_op 0
		.amdhsa_exception_fp_denorm_src 0
		.amdhsa_exception_fp_ieee_div_zero 0
		.amdhsa_exception_fp_ieee_overflow 0
		.amdhsa_exception_fp_ieee_underflow 0
		.amdhsa_exception_fp_ieee_inexact 0
		.amdhsa_exception_int_div_zero 0
	.end_amdhsa_kernel
	.section	.text._ZL19rocblas_tbsv_kernelILb1ELi512EPK19rocblas_complex_numIdEPS1_Ev18rocblas_operation_bbiiT1_lllT2_lll,"axG",@progbits,_ZL19rocblas_tbsv_kernelILb1ELi512EPK19rocblas_complex_numIdEPS1_Ev18rocblas_operation_bbiiT1_lllT2_lll,comdat
.Lfunc_end6:
	.size	_ZL19rocblas_tbsv_kernelILb1ELi512EPK19rocblas_complex_numIdEPS1_Ev18rocblas_operation_bbiiT1_lllT2_lll, .Lfunc_end6-_ZL19rocblas_tbsv_kernelILb1ELi512EPK19rocblas_complex_numIdEPS1_Ev18rocblas_operation_bbiiT1_lllT2_lll
                                        ; -- End function
	.set _ZL19rocblas_tbsv_kernelILb1ELi512EPK19rocblas_complex_numIdEPS1_Ev18rocblas_operation_bbiiT1_lllT2_lll.num_vgpr, 33
	.set _ZL19rocblas_tbsv_kernelILb1ELi512EPK19rocblas_complex_numIdEPS1_Ev18rocblas_operation_bbiiT1_lllT2_lll.num_agpr, 0
	.set _ZL19rocblas_tbsv_kernelILb1ELi512EPK19rocblas_complex_numIdEPS1_Ev18rocblas_operation_bbiiT1_lllT2_lll.numbered_sgpr, 70
	.set _ZL19rocblas_tbsv_kernelILb1ELi512EPK19rocblas_complex_numIdEPS1_Ev18rocblas_operation_bbiiT1_lllT2_lll.num_named_barrier, 0
	.set _ZL19rocblas_tbsv_kernelILb1ELi512EPK19rocblas_complex_numIdEPS1_Ev18rocblas_operation_bbiiT1_lllT2_lll.private_seg_size, 0
	.set _ZL19rocblas_tbsv_kernelILb1ELi512EPK19rocblas_complex_numIdEPS1_Ev18rocblas_operation_bbiiT1_lllT2_lll.uses_vcc, 1
	.set _ZL19rocblas_tbsv_kernelILb1ELi512EPK19rocblas_complex_numIdEPS1_Ev18rocblas_operation_bbiiT1_lllT2_lll.uses_flat_scratch, 0
	.set _ZL19rocblas_tbsv_kernelILb1ELi512EPK19rocblas_complex_numIdEPS1_Ev18rocblas_operation_bbiiT1_lllT2_lll.has_dyn_sized_stack, 0
	.set _ZL19rocblas_tbsv_kernelILb1ELi512EPK19rocblas_complex_numIdEPS1_Ev18rocblas_operation_bbiiT1_lllT2_lll.has_recursion, 0
	.set _ZL19rocblas_tbsv_kernelILb1ELi512EPK19rocblas_complex_numIdEPS1_Ev18rocblas_operation_bbiiT1_lllT2_lll.has_indirect_call, 0
	.section	.AMDGPU.csdata,"",@progbits
; Kernel info:
; codeLenInByte = 7748
; TotalNumSgprs: 74
; NumVgprs: 33
; ScratchSize: 0
; MemoryBound: 0
; FloatMode: 240
; IeeeMode: 1
; LDSByteSize: 32768 bytes/workgroup (compile time only)
; SGPRBlocks: 12
; VGPRBlocks: 12
; NumSGPRsForWavesPerEU: 102
; NumVGPRsForWavesPerEU: 49
; Occupancy: 4
; WaveLimiterHint : 0
; COMPUTE_PGM_RSRC2:SCRATCH_EN: 0
; COMPUTE_PGM_RSRC2:USER_SGPR: 6
; COMPUTE_PGM_RSRC2:TRAP_HANDLER: 0
; COMPUTE_PGM_RSRC2:TGID_X_EN: 1
; COMPUTE_PGM_RSRC2:TGID_Y_EN: 0
; COMPUTE_PGM_RSRC2:TGID_Z_EN: 0
; COMPUTE_PGM_RSRC2:TIDIG_COMP_CNT: 0
	.section	.text._ZL19rocblas_tbsv_kernelILb0ELi512EPK19rocblas_complex_numIdEPS1_Ev18rocblas_operation_bbiiT1_lllT2_lll,"axG",@progbits,_ZL19rocblas_tbsv_kernelILb0ELi512EPK19rocblas_complex_numIdEPS1_Ev18rocblas_operation_bbiiT1_lllT2_lll,comdat
	.globl	_ZL19rocblas_tbsv_kernelILb0ELi512EPK19rocblas_complex_numIdEPS1_Ev18rocblas_operation_bbiiT1_lllT2_lll ; -- Begin function _ZL19rocblas_tbsv_kernelILb0ELi512EPK19rocblas_complex_numIdEPS1_Ev18rocblas_operation_bbiiT1_lllT2_lll
	.p2align	8
	.type	_ZL19rocblas_tbsv_kernelILb0ELi512EPK19rocblas_complex_numIdEPS1_Ev18rocblas_operation_bbiiT1_lllT2_lll,@function
_ZL19rocblas_tbsv_kernelILb0ELi512EPK19rocblas_complex_numIdEPS1_Ev18rocblas_operation_bbiiT1_lllT2_lll: ; @_ZL19rocblas_tbsv_kernelILb0ELi512EPK19rocblas_complex_numIdEPS1_Ev18rocblas_operation_bbiiT1_lllT2_lll
; %bb.0:
	s_load_dwordx2 s[0:1], s[4:5], 0x0
	s_load_dwordx4 s[24:27], s[4:5], 0x4
	s_load_dwordx16 s[8:23], s[4:5], 0x10
	s_waitcnt lgkmcnt(0)
	s_bitcmp1_b32 s1, 0
	s_cselect_b64 s[2:3], -1, 0
	s_xor_b64 s[36:37], s[2:3], -1
	s_bitcmp1_b32 s24, 8
	s_mul_i32 s1, s15, s6
	s_mul_hi_u32 s2, s14, s6
	s_cselect_b64 s[4:5], -1, 0
	s_add_i32 s15, s2, s1
	s_mul_i32 s14, s14, s6
	s_lshl_b64 s[28:29], s[14:15], 4
	s_add_u32 s1, s8, s28
	s_addc_u32 s2, s9, s29
	s_lshl_b64 s[30:31], s[10:11], 4
	s_add_u32 s34, s1, s30
	s_addc_u32 s35, s2, s31
	s_mul_i32 s1, s23, s6
	s_mul_hi_u32 s2, s22, s6
	s_add_i32 s3, s2, s1
	s_mul_i32 s2, s22, s6
	s_lshl_b64 s[2:3], s[2:3], 4
	s_add_u32 s1, s16, s2
	s_addc_u32 s6, s17, s3
	s_lshl_b64 s[2:3], s[18:19], 4
	s_add_u32 s24, s1, s2
	s_addc_u32 s33, s6, s3
	s_cmp_gt_i32 s25, 0
	s_cselect_b64 s[6:7], -1, 0
	s_cmpk_lg_i32 s0, 0x6f
	s_mov_b64 s[0:1], -1
	s_cbranch_scc0 .LBB7_83
; %bb.1:
	s_and_b64 vcc, exec, s[36:37]
	s_cbranch_vccz .LBB7_42
; %bb.2:
	s_andn2_b64 vcc, exec, s[6:7]
	s_cbranch_vccnz .LBB7_41
; %bb.3:
	s_add_i32 s42, s25, 0xfffffe00
	s_add_i32 s27, s25, -1
	s_add_u32 s2, s28, s30
	s_addc_u32 s3, s29, s31
	s_ashr_i32 s1, s25, 31
	s_mov_b32 s0, s25
	s_lshl_b64 s[0:1], s[0:1], 4
	s_add_u32 s0, s2, s0
	s_addc_u32 s1, s3, s1
	s_add_u32 s0, s8, s0
	v_mov_b32_e32 v1, 0x6000
	s_addc_u32 s1, s9, s1
	v_lshl_or_b32 v15, v0, 4, v1
	s_add_u32 s16, s0, 0xffffe010
	v_add_u32_e32 v1, s25, v0
	v_sub_u32_e32 v16, 0, v0
	s_addc_u32 s17, s1, -1
	v_add_u32_e32 v17, 0xfffffc00, v1
	s_lshl_b64 s[18:19], s[12:13], 4
	v_mov_b32_e32 v18, s35
	s_xor_b64 s[22:23], s[4:5], -1
	v_mov_b32_e32 v14, 0
	s_mov_b32 s48, s25
	s_branch .LBB7_5
.LBB7_4:                                ;   in Loop: Header=BB7_5 Depth=1
	s_or_b64 exec, exec, s[38:39]
	s_addk_i32 s27, 0xfe00
	s_addk_i32 s48, 0xfe00
	s_add_u32 s16, s16, 0xffffe000
	s_addc_u32 s17, s17, -1
	v_add_u32_e32 v17, 0xfffffe00, v17
	s_andn2_b64 vcc, exec, s[2:3]
	s_mov_b32 s42, s49
	s_waitcnt vmcnt(0)
	s_barrier
	s_cbranch_vccz .LBB7_41
.LBB7_5:                                ; =>This Loop Header: Depth=1
                                        ;     Child Loop BB7_10 Depth 2
                                        ;     Child Loop BB7_23 Depth 2
                                        ;       Child Loop BB7_26 Depth 3
	v_add_u32_e32 v19, s42, v0
	v_cmp_gt_i32_e32 vcc, 0, v19
	v_cmp_lt_i32_e64 s[0:1], -1, v19
	s_and_saveexec_b64 s[38:39], s[0:1]
	s_cbranch_execz .LBB7_7
; %bb.6:                                ;   in Loop: Header=BB7_5 Depth=1
	v_mad_u64_u32 v[1:2], s[2:3], s20, v19, 0
	v_mad_u64_u32 v[2:3], s[2:3], s21, v19, v[2:3]
	v_mov_b32_e32 v3, s33
	v_lshlrev_b64 v[1:2], 4, v[1:2]
	v_add_co_u32_e64 v1, s[2:3], s24, v1
	v_addc_co_u32_e64 v2, s[2:3], v3, v2, s[2:3]
	global_load_dwordx4 v[1:4], v[1:2], off
	s_waitcnt vmcnt(0)
	ds_write2_b64 v15, v[1:2], v[3:4] offset1:1
.LBB7_7:                                ;   in Loop: Header=BB7_5 Depth=1
	s_or_b64 exec, exec, s[38:39]
	v_ashrrev_i32_e32 v1, 31, v19
	v_mul_lo_u32 v3, s13, v19
	v_mul_lo_u32 v4, s12, v1
	v_mad_u64_u32 v[1:2], s[2:3], s12, v19, 0
	v_add_u32_e32 v20, s26, v19
	s_movk_i32 s43, 0x1ff
	v_add3_u32 v2, v2, v4, v3
	v_lshlrev_b64 v[1:2], 4, v[1:2]
	s_movk_i32 s44, 0x7ff0
	v_add_co_u32_e64 v21, s[2:3], s34, v1
	v_addc_co_u32_e64 v22, s[2:3], v18, v2, s[2:3]
	s_xor_b64 s[38:39], vcc, -1
	s_waitcnt lgkmcnt(0)
	s_barrier
	s_branch .LBB7_10
.LBB7_8:                                ;   in Loop: Header=BB7_10 Depth=2
	s_or_b64 exec, exec, s[2:3]
	s_add_i32 s43, s43, -1
	s_add_i32 s44, s44, -16
	s_cmp_eq_u32 s43, -1
	s_cselect_b64 s[2:3], -1, 0
.LBB7_9:                                ;   in Loop: Header=BB7_10 Depth=2
	s_and_b64 vcc, exec, s[2:3]
	s_cbranch_vccnz .LBB7_19
.LBB7_10:                               ;   Parent Loop BB7_5 Depth=1
                                        ; =>  This Inner Loop Header: Depth=2
	s_add_i32 s45, s27, s43
	s_addk_i32 s45, 0xfe01
	s_cmp_lt_i32 s45, 0
	s_mov_b64 s[2:3], -1
	s_cbranch_scc1 .LBB7_9
; %bb.11:                               ;   in Loop: Header=BB7_10 Depth=2
	v_add_u32_e32 v13, s43, v16
	v_cmp_eq_u32_e32 vcc, 0, v13
	s_and_b64 s[40:41], s[22:23], vcc
	s_and_saveexec_b64 s[2:3], s[40:41]
	s_cbranch_execz .LBB7_17
; %bb.12:                               ;   in Loop: Header=BB7_10 Depth=2
	s_mul_i32 s40, s13, s45
	s_mul_hi_u32 s41, s12, s45
	s_add_i32 s41, s41, s40
	s_mul_i32 s40, s12, s45
	s_lshl_b64 s[40:41], s[40:41], 4
	s_add_u32 s40, s34, s40
	s_addc_u32 s41, s35, s41
	global_load_dwordx4 v[5:8], v14, s[40:41]
	ds_read_b128 v[1:4], v15
	s_mov_b64 s[40:41], -1
                                        ; implicit-def: $vgpr9_vgpr10
	s_waitcnt vmcnt(0)
	v_cmp_ngt_f64_e64 s[46:47], |v[5:6]|, |v[7:8]|
	s_and_b64 vcc, exec, s[46:47]
	s_cbranch_vccz .LBB7_14
; %bb.13:                               ;   in Loop: Header=BB7_10 Depth=2
	v_div_scale_f64 v[9:10], s[40:41], v[7:8], v[7:8], v[5:6]
	v_rcp_f64_e32 v[11:12], v[9:10]
	v_fma_f64 v[23:24], -v[9:10], v[11:12], 1.0
	v_fma_f64 v[11:12], v[11:12], v[23:24], v[11:12]
	v_div_scale_f64 v[23:24], vcc, v[5:6], v[7:8], v[5:6]
	v_fma_f64 v[25:26], -v[9:10], v[11:12], 1.0
	v_fma_f64 v[11:12], v[11:12], v[25:26], v[11:12]
	v_mul_f64 v[25:26], v[23:24], v[11:12]
	v_fma_f64 v[9:10], -v[9:10], v[25:26], v[23:24]
	v_div_fmas_f64 v[9:10], v[9:10], v[11:12], v[25:26]
	v_div_fixup_f64 v[9:10], v[9:10], v[7:8], v[5:6]
	v_fma_f64 v[11:12], v[5:6], v[9:10], v[7:8]
	v_div_scale_f64 v[23:24], s[40:41], v[11:12], v[11:12], 1.0
	s_mov_b64 s[40:41], 0
	v_rcp_f64_e32 v[25:26], v[23:24]
	v_fma_f64 v[27:28], -v[23:24], v[25:26], 1.0
	v_fma_f64 v[25:26], v[25:26], v[27:28], v[25:26]
	v_div_scale_f64 v[27:28], vcc, 1.0, v[11:12], 1.0
	v_fma_f64 v[29:30], -v[23:24], v[25:26], 1.0
	v_fma_f64 v[25:26], v[25:26], v[29:30], v[25:26]
	v_mul_f64 v[29:30], v[27:28], v[25:26]
	v_fma_f64 v[23:24], -v[23:24], v[29:30], v[27:28]
	v_div_fmas_f64 v[23:24], v[23:24], v[25:26], v[29:30]
	s_waitcnt lgkmcnt(0)
	v_fma_f64 v[25:26], v[9:10], v[1:2], v[3:4]
	v_div_fixup_f64 v[11:12], v[23:24], v[11:12], 1.0
	v_fma_f64 v[23:24], v[9:10], v[3:4], -v[1:2]
	v_mul_f64 v[9:10], v[25:26], v[11:12]
	v_mul_f64 v[11:12], v[11:12], v[23:24]
.LBB7_14:                               ;   in Loop: Header=BB7_10 Depth=2
	s_andn2_b64 vcc, exec, s[40:41]
	s_cbranch_vccnz .LBB7_16
; %bb.15:                               ;   in Loop: Header=BB7_10 Depth=2
	v_div_scale_f64 v[9:10], s[40:41], v[5:6], v[5:6], v[7:8]
	v_rcp_f64_e32 v[11:12], v[9:10]
	v_fma_f64 v[23:24], -v[9:10], v[11:12], 1.0
	v_fma_f64 v[11:12], v[11:12], v[23:24], v[11:12]
	v_div_scale_f64 v[23:24], vcc, v[7:8], v[5:6], v[7:8]
	v_fma_f64 v[25:26], -v[9:10], v[11:12], 1.0
	v_fma_f64 v[11:12], v[11:12], v[25:26], v[11:12]
	v_mul_f64 v[25:26], v[23:24], v[11:12]
	v_fma_f64 v[9:10], -v[9:10], v[25:26], v[23:24]
	v_div_fmas_f64 v[9:10], v[9:10], v[11:12], v[25:26]
	v_div_fixup_f64 v[9:10], v[9:10], v[5:6], v[7:8]
	v_fma_f64 v[5:6], v[7:8], v[9:10], v[5:6]
	v_div_scale_f64 v[7:8], s[40:41], v[5:6], v[5:6], 1.0
	v_rcp_f64_e32 v[11:12], v[7:8]
	v_fma_f64 v[23:24], -v[7:8], v[11:12], 1.0
	v_fma_f64 v[11:12], v[11:12], v[23:24], v[11:12]
	v_div_scale_f64 v[23:24], vcc, 1.0, v[5:6], 1.0
	v_fma_f64 v[25:26], -v[7:8], v[11:12], 1.0
	v_fma_f64 v[11:12], v[11:12], v[25:26], v[11:12]
	v_mul_f64 v[25:26], v[23:24], v[11:12]
	v_fma_f64 v[7:8], -v[7:8], v[25:26], v[23:24]
	v_div_fmas_f64 v[7:8], v[7:8], v[11:12], v[25:26]
	s_waitcnt lgkmcnt(0)
	v_fma_f64 v[11:12], v[9:10], v[3:4], v[1:2]
	v_fma_f64 v[1:2], -v[9:10], v[1:2], v[3:4]
	v_div_fixup_f64 v[5:6], v[7:8], v[5:6], 1.0
	v_mul_f64 v[9:10], v[5:6], v[11:12]
	v_mul_f64 v[11:12], v[1:2], v[5:6]
.LBB7_16:                               ;   in Loop: Header=BB7_10 Depth=2
	ds_write_b128 v15, v[9:12]
.LBB7_17:                               ;   in Loop: Header=BB7_10 Depth=2
	s_or_b64 exec, exec, s[2:3]
	v_cmp_gt_u32_e32 vcc, s43, v0
	v_cmp_le_i32_e64 s[2:3], s45, v20
	s_and_b64 s[40:41], s[38:39], vcc
	s_and_b64 s[40:41], s[40:41], s[2:3]
	s_waitcnt lgkmcnt(0)
	s_barrier
	s_and_saveexec_b64 s[2:3], s[40:41]
	s_cbranch_execz .LBB7_8
; %bb.18:                               ;   in Loop: Header=BB7_10 Depth=2
	v_lshlrev_b64 v[1:2], 4, v[13:14]
	v_mov_b32_e32 v5, s44
	v_add_co_u32_e32 v1, vcc, v21, v1
	v_addc_co_u32_e32 v2, vcc, v22, v2, vcc
	global_load_dwordx4 v[1:4], v[1:2], off
	ds_read_b128 v[5:8], v5
	s_waitcnt vmcnt(0) lgkmcnt(0)
	v_mul_f64 v[9:10], v[3:4], v[7:8]
	v_mul_f64 v[7:8], v[1:2], v[7:8]
	v_fma_f64 v[9:10], v[1:2], v[5:6], -v[9:10]
	v_fma_f64 v[5:6], v[3:4], v[5:6], v[7:8]
	ds_read_b128 v[1:4], v15
	s_waitcnt lgkmcnt(0)
	v_add_f64 v[1:2], v[1:2], -v[9:10]
	v_add_f64 v[3:4], v[3:4], -v[5:6]
	ds_write_b128 v15, v[1:4]
	s_branch .LBB7_8
.LBB7_19:                               ;   in Loop: Header=BB7_5 Depth=1
	s_add_i32 s49, s42, 0xfffffe00
	s_cmp_lt_i32 s42, 1
	s_cselect_b64 s[2:3], -1, 0
	s_and_b64 vcc, exec, s[2:3]
	s_waitcnt lgkmcnt(0)
	s_barrier
	s_cbranch_vccnz .LBB7_39
; %bb.20:                               ;   in Loop: Header=BB7_5 Depth=1
	v_mad_i64_i32 v[1:2], s[38:39], v17, -16, s[16:17]
	s_mov_b64 s[38:39], 0
	v_mov_b32_e32 v9, v17
	v_mov_b32_e32 v10, v0
	s_mov_b32 s50, s49
                                        ; implicit-def: $sgpr40_sgpr41
	s_branch .LBB7_23
.LBB7_21:                               ;   in Loop: Header=BB7_23 Depth=2
	v_mad_u64_u32 v[7:8], s[44:45], s20, v11, 0
	s_add_i32 s46, s50, 0xfffffe00
	s_cmp_lt_i32 s50, 1
	v_mad_u64_u32 v[11:12], s[44:45], s21, v11, v[8:9]
	v_mov_b32_e32 v12, s33
	s_cselect_b64 s[44:45], -1, 0
	v_mov_b32_e32 v8, v11
	v_lshlrev_b64 v[7:8], 4, v[7:8]
	s_andn2_b64 s[40:41], s[40:41], exec
	v_add_co_u32_e32 v11, vcc, s24, v7
	v_addc_co_u32_e32 v12, vcc, v12, v8, vcc
	global_load_dwordx4 v[20:23], v[11:12], off
	v_add_co_u32_e32 v1, vcc, 0x2000, v1
	s_and_b64 s[44:45], s[44:45], exec
	v_add_u32_e32 v9, 0xfffffe00, v9
	v_addc_co_u32_e32 v2, vcc, 0, v2, vcc
	s_or_b64 s[40:41], s[40:41], s[44:45]
	s_mov_b32 s50, s46
	s_waitcnt vmcnt(0)
	v_add_f64 v[5:6], v[20:21], -v[5:6]
	v_add_f64 v[7:8], v[22:23], -v[3:4]
	global_store_dwordx4 v[11:12], v[5:8], off
.LBB7_22:                               ;   in Loop: Header=BB7_23 Depth=2
	s_or_b64 exec, exec, s[42:43]
	s_and_b64 s[42:43], exec, s[40:41]
	s_or_b64 s[38:39], s[42:43], s[38:39]
	s_andn2_b64 exec, exec, s[38:39]
	s_cbranch_execz .LBB7_38
.LBB7_23:                               ;   Parent Loop BB7_5 Depth=1
                                        ; =>  This Loop Header: Depth=2
                                        ;       Child Loop BB7_26 Depth 3
	v_add_u32_e32 v11, s50, v0
	v_cmp_lt_i32_e32 vcc, -1, v11
	s_or_b64 s[40:41], s[40:41], exec
	s_and_saveexec_b64 s[42:43], vcc
	s_cbranch_execz .LBB7_22
; %bb.24:                               ;   in Loop: Header=BB7_23 Depth=2
	v_mad_u64_u32 v[7:8], s[44:45], s18, v9, v[1:2]
	v_add_u32_e32 v12, s26, v11
	v_add_u32_e32 v13, 0xfffffdff, v10
	v_mov_b32_e32 v3, v8
	v_mad_u64_u32 v[5:6], s[44:45], s19, v9, v[3:4]
	v_mov_b32_e32 v3, 0
	v_add_u32_e32 v10, 0xfffffe00, v10
	v_mov_b32_e32 v8, v5
	v_mov_b32_e32 v5, 0
	;; [unrolled: 1-line block ×3, first 2 shown]
	s_mov_b32 s51, 0
	v_mov_b32_e32 v6, 0
	s_movk_i32 s52, 0x6000
	s_branch .LBB7_26
.LBB7_25:                               ;   in Loop: Header=BB7_26 Depth=3
	s_or_b64 exec, exec, s[44:45]
	s_add_i32 s51, s51, 2
	s_add_i32 s52, s52, 32
	v_add_co_u32_e32 v7, vcc, 32, v7
	s_cmpk_eq_i32 s51, 0x200
	v_addc_co_u32_e32 v8, vcc, 0, v8, vcc
	s_cbranch_scc1 .LBB7_21
.LBB7_26:                               ;   Parent Loop BB7_5 Depth=1
                                        ;     Parent Loop BB7_23 Depth=2
                                        ; =>    This Inner Loop Header: Depth=3
	v_cmp_ne_u32_e32 vcc, s51, v10
	s_add_i32 s53, s48, s51
	s_or_b64 s[44:45], s[22:23], vcc
	s_and_saveexec_b64 s[46:47], s[44:45]
	s_xor_b64 s[44:45], exec, s[46:47]
	s_cbranch_execz .LBB7_30
; %bb.27:                               ;   in Loop: Header=BB7_26 Depth=3
	s_add_i32 s46, s53, 0xfffffe00
	v_cmp_le_i32_e32 vcc, s46, v12
	s_and_saveexec_b64 s[46:47], vcc
	s_cbranch_execz .LBB7_29
; %bb.28:                               ;   in Loop: Header=BB7_26 Depth=3
	global_load_dwordx4 v[20:23], v[7:8], off offset:-16
	v_mov_b32_e32 v24, s52
	ds_read_b128 v[24:27], v24
	s_waitcnt vmcnt(0) lgkmcnt(0)
	v_mul_f64 v[28:29], v[22:23], v[26:27]
	v_mul_f64 v[26:27], v[20:21], v[26:27]
	v_fma_f64 v[20:21], v[20:21], v[24:25], -v[28:29]
	v_fma_f64 v[22:23], v[22:23], v[24:25], v[26:27]
	v_add_f64 v[5:6], v[5:6], v[20:21]
	v_add_f64 v[3:4], v[3:4], v[22:23]
.LBB7_29:                               ;   in Loop: Header=BB7_26 Depth=3
	s_or_b64 exec, exec, s[46:47]
.LBB7_30:                               ;   in Loop: Header=BB7_26 Depth=3
	s_andn2_saveexec_b64 s[44:45], s[44:45]
	s_cbranch_execz .LBB7_32
; %bb.31:                               ;   in Loop: Header=BB7_26 Depth=3
	v_mov_b32_e32 v20, s52
	ds_read_b128 v[20:23], v20
	s_waitcnt lgkmcnt(0)
	v_add_f64 v[5:6], v[5:6], v[20:21]
	v_add_f64 v[3:4], v[3:4], v[22:23]
.LBB7_32:                               ;   in Loop: Header=BB7_26 Depth=3
	s_or_b64 exec, exec, s[44:45]
	v_cmp_ne_u32_e32 vcc, s51, v13
	s_or_b64 s[44:45], s[22:23], vcc
	s_and_saveexec_b64 s[46:47], s[44:45]
	s_xor_b64 s[44:45], exec, s[46:47]
	s_cbranch_execz .LBB7_36
; %bb.33:                               ;   in Loop: Header=BB7_26 Depth=3
	s_addk_i32 s53, 0xfe01
	v_cmp_le_i32_e32 vcc, s53, v12
	s_and_saveexec_b64 s[46:47], vcc
	s_cbranch_execz .LBB7_35
; %bb.34:                               ;   in Loop: Header=BB7_26 Depth=3
	global_load_dwordx4 v[20:23], v[7:8], off
	v_mov_b32_e32 v24, s52
	ds_read_b128 v[24:27], v24 offset:16
	s_waitcnt vmcnt(0) lgkmcnt(0)
	v_mul_f64 v[28:29], v[22:23], v[26:27]
	v_mul_f64 v[26:27], v[20:21], v[26:27]
	v_fma_f64 v[20:21], v[20:21], v[24:25], -v[28:29]
	v_fma_f64 v[22:23], v[22:23], v[24:25], v[26:27]
	v_add_f64 v[5:6], v[5:6], v[20:21]
	v_add_f64 v[3:4], v[3:4], v[22:23]
.LBB7_35:                               ;   in Loop: Header=BB7_26 Depth=3
	s_or_b64 exec, exec, s[46:47]
.LBB7_36:                               ;   in Loop: Header=BB7_26 Depth=3
	s_andn2_saveexec_b64 s[44:45], s[44:45]
	s_cbranch_execz .LBB7_25
; %bb.37:                               ;   in Loop: Header=BB7_26 Depth=3
	v_mov_b32_e32 v20, s52
	ds_read_b128 v[20:23], v20 offset:16
	s_waitcnt lgkmcnt(0)
	v_add_f64 v[5:6], v[5:6], v[20:21]
	v_add_f64 v[3:4], v[3:4], v[22:23]
	s_branch .LBB7_25
.LBB7_38:                               ;   in Loop: Header=BB7_5 Depth=1
	s_or_b64 exec, exec, s[38:39]
.LBB7_39:                               ;   in Loop: Header=BB7_5 Depth=1
	s_and_saveexec_b64 s[38:39], s[0:1]
	s_cbranch_execz .LBB7_4
; %bb.40:                               ;   in Loop: Header=BB7_5 Depth=1
	v_mad_u64_u32 v[5:6], s[0:1], s20, v19, 0
	v_mov_b32_e32 v1, v6
	v_mad_u64_u32 v[6:7], s[0:1], s21, v19, v[1:2]
	ds_read2_b64 v[1:4], v15 offset1:1
	v_mov_b32_e32 v7, s33
	v_lshlrev_b64 v[5:6], 4, v[5:6]
	v_add_co_u32_e32 v5, vcc, s24, v5
	v_addc_co_u32_e32 v6, vcc, v7, v6, vcc
	s_waitcnt lgkmcnt(0)
	global_store_dwordx4 v[5:6], v[1:4], off
	s_branch .LBB7_4
.LBB7_41:
	s_mov_b64 s[0:1], 0
.LBB7_42:
	s_andn2_b64 vcc, exec, s[0:1]
	s_cbranch_vccnz .LBB7_82
; %bb.43:
	s_andn2_b64 vcc, exec, s[6:7]
	s_cbranch_vccnz .LBB7_82
; %bb.44:
	s_ashr_i32 s27, s26, 31
	s_lshl_b64 s[16:17], s[12:13], 4
	s_add_u32 s18, s16, -16
	s_addc_u32 s22, s17, -1
	s_lshl_b64 s[0:1], s[26:27], 4
	s_add_u32 s2, s8, s0
	s_addc_u32 s3, s9, s1
	s_add_u32 s2, s2, s30
	s_addc_u32 s3, s3, s31
	;; [unrolled: 2-line block ×3, first 2 shown]
	v_mov_b32_e32 v1, s2
	v_mov_b32_e32 v2, s3
	v_mad_u64_u32 v[1:2], s[18:19], s18, v0, v[1:2]
	v_mov_b32_e32 v3, 0x2000
	v_lshl_or_b32 v21, v0, 4, v3
	v_mad_u64_u32 v[2:3], s[18:19], s22, v0, v[2:3]
	v_add_co_u32_e32 v13, vcc, 8, v1
	s_lshl_b64 s[18:19], s[12:13], 13
	v_or_b32_e32 v22, 0x200, v0
	v_addc_co_u32_e32 v14, vcc, 0, v2, vcc
	s_add_u32 s27, s28, s30
	v_mad_u64_u32 v[1:2], s[22:23], s12, v22, 0
	s_addc_u32 s38, s29, s31
	s_add_u32 s0, s27, s0
	s_addc_u32 s22, s38, s1
	s_add_u32 s23, s8, s0
	v_mad_u64_u32 v[2:3], s[0:1], s13, v22, v[2:3]
	s_addc_u32 s0, s9, s22
	s_add_u32 s22, s23, 8
	v_lshlrev_b64 v[1:2], 4, v[1:2]
	s_addc_u32 s23, s0, 0
	v_mov_b32_e32 v3, s3
	v_add_co_u32_e32 v1, vcc, s2, v1
	s_add_u32 s27, s18, 0x2000
	v_addc_co_u32_e32 v2, vcc, v3, v2, vcc
	s_addc_u32 s50, s19, 0
	v_add_co_u32_e32 v15, vcc, 16, v1
	s_add_u32 s51, s18, 0xffffe000
	v_addc_co_u32_e32 v16, vcc, 0, v2, vcc
	s_addc_u32 s52, s19, -1
	s_mov_b32 s53, 0
	s_xor_b64 s[38:39], s[4:5], -1
	s_branch .LBB7_46
.LBB7_45:                               ;   in Loop: Header=BB7_46 Depth=1
	s_or_b64 exec, exec, s[40:41]
	v_mov_b32_e32 v1, s19
	v_add_co_u32_e32 v13, vcc, s18, v13
	v_addc_co_u32_e32 v14, vcc, v14, v1, vcc
	v_mov_b32_e32 v1, s50
	v_add_co_u32_e32 v15, vcc, s27, v15
	s_add_u32 s22, s22, s18
	v_addc_co_u32_e32 v16, vcc, v16, v1, vcc
	s_addc_u32 s23, s23, s19
	v_add_u32_e32 v22, 0x200, v22
	s_and_b64 vcc, exec, s[2:3]
	s_mov_b32 s53, s54
	s_waitcnt vmcnt(0)
	s_barrier
	s_cbranch_vccnz .LBB7_82
.LBB7_46:                               ; =>This Loop Header: Depth=1
                                        ;     Child Loop BB7_51 Depth 2
                                        ;     Child Loop BB7_64 Depth 2
                                        ;       Child Loop BB7_67 Depth 3
	v_add_u32_e32 v23, s53, v0
	v_cmp_le_i32_e32 vcc, s25, v23
	v_cmp_gt_i32_e64 s[0:1], s25, v23
	s_and_saveexec_b64 s[40:41], s[0:1]
	s_cbranch_execz .LBB7_48
; %bb.47:                               ;   in Loop: Header=BB7_46 Depth=1
	v_mad_u64_u32 v[1:2], s[2:3], s20, v23, 0
	v_mad_u64_u32 v[2:3], s[2:3], s21, v23, v[2:3]
	v_mov_b32_e32 v3, s33
	v_lshlrev_b64 v[1:2], 4, v[1:2]
	v_add_co_u32_e64 v1, s[2:3], s24, v1
	v_addc_co_u32_e64 v2, s[2:3], v3, v2, s[2:3]
	global_load_dwordx4 v[1:4], v[1:2], off
	s_waitcnt vmcnt(0)
	ds_write2_b64 v21, v[1:2], v[3:4] offset1:1
.LBB7_48:                               ;   in Loop: Header=BB7_46 Depth=1
	s_or_b64 exec, exec, s[40:41]
	v_mov_b32_e32 v17, s22
	v_mov_b32_e32 v20, v14
	v_subrev_u32_e32 v24, s26, v23
	s_mov_b32 s44, 0
	s_movk_i32 s45, 0x2000
	v_mov_b32_e32 v18, s23
	s_xor_b64 s[40:41], vcc, -1
	v_mov_b32_e32 v19, v13
	s_waitcnt lgkmcnt(0)
	s_barrier
	s_branch .LBB7_51
.LBB7_49:                               ;   in Loop: Header=BB7_51 Depth=2
	s_or_b64 exec, exec, s[2:3]
	v_add_co_u32_e32 v19, vcc, 16, v19
	s_add_i32 s44, s44, 1
	s_add_i32 s45, s45, 16
	v_addc_co_u32_e32 v20, vcc, 0, v20, vcc
	v_mov_b32_e32 v1, s17
	v_add_co_u32_e32 v17, vcc, s16, v17
	s_cmpk_eq_i32 s44, 0x200
	v_addc_co_u32_e32 v18, vcc, v18, v1, vcc
	s_cselect_b64 s[2:3], -1, 0
.LBB7_50:                               ;   in Loop: Header=BB7_51 Depth=2
	s_and_b64 vcc, exec, s[2:3]
	s_cbranch_vccnz .LBB7_60
.LBB7_51:                               ;   Parent Loop BB7_46 Depth=1
                                        ; =>  This Inner Loop Header: Depth=2
	s_add_i32 s46, s53, s44
	s_cmp_ge_i32 s46, s25
	s_mov_b64 s[2:3], -1
	s_cbranch_scc1 .LBB7_50
; %bb.52:                               ;   in Loop: Header=BB7_51 Depth=2
	v_cmp_eq_u32_e32 vcc, s44, v0
	s_and_b64 s[42:43], s[38:39], vcc
	s_and_saveexec_b64 s[2:3], s[42:43]
	s_cbranch_execz .LBB7_58
; %bb.53:                               ;   in Loop: Header=BB7_51 Depth=2
	global_load_dwordx4 v[5:8], v[17:18], off offset:-8
	ds_read_b128 v[1:4], v21
	s_mov_b64 s[42:43], -1
                                        ; implicit-def: $vgpr9_vgpr10
	s_waitcnt vmcnt(0)
	v_cmp_ngt_f64_e64 s[48:49], |v[5:6]|, |v[7:8]|
	s_and_b64 vcc, exec, s[48:49]
	s_cbranch_vccz .LBB7_55
; %bb.54:                               ;   in Loop: Header=BB7_51 Depth=2
	v_div_scale_f64 v[9:10], s[42:43], v[7:8], v[7:8], v[5:6]
	v_rcp_f64_e32 v[11:12], v[9:10]
	v_fma_f64 v[25:26], -v[9:10], v[11:12], 1.0
	v_fma_f64 v[11:12], v[11:12], v[25:26], v[11:12]
	v_div_scale_f64 v[25:26], vcc, v[5:6], v[7:8], v[5:6]
	v_fma_f64 v[27:28], -v[9:10], v[11:12], 1.0
	v_fma_f64 v[11:12], v[11:12], v[27:28], v[11:12]
	v_mul_f64 v[27:28], v[25:26], v[11:12]
	v_fma_f64 v[9:10], -v[9:10], v[27:28], v[25:26]
	v_div_fmas_f64 v[9:10], v[9:10], v[11:12], v[27:28]
	v_div_fixup_f64 v[9:10], v[9:10], v[7:8], v[5:6]
	v_fma_f64 v[11:12], v[5:6], v[9:10], v[7:8]
	v_div_scale_f64 v[25:26], s[42:43], v[11:12], v[11:12], 1.0
	s_mov_b64 s[42:43], 0
	v_rcp_f64_e32 v[27:28], v[25:26]
	v_fma_f64 v[29:30], -v[25:26], v[27:28], 1.0
	v_fma_f64 v[27:28], v[27:28], v[29:30], v[27:28]
	v_div_scale_f64 v[29:30], vcc, 1.0, v[11:12], 1.0
	v_fma_f64 v[31:32], -v[25:26], v[27:28], 1.0
	v_fma_f64 v[27:28], v[27:28], v[31:32], v[27:28]
	v_mul_f64 v[31:32], v[29:30], v[27:28]
	v_fma_f64 v[25:26], -v[25:26], v[31:32], v[29:30]
	v_div_fmas_f64 v[25:26], v[25:26], v[27:28], v[31:32]
	s_waitcnt lgkmcnt(0)
	v_fma_f64 v[27:28], v[9:10], v[1:2], v[3:4]
	v_div_fixup_f64 v[11:12], v[25:26], v[11:12], 1.0
	v_fma_f64 v[25:26], v[9:10], v[3:4], -v[1:2]
	v_mul_f64 v[9:10], v[27:28], v[11:12]
	v_mul_f64 v[11:12], v[11:12], v[25:26]
.LBB7_55:                               ;   in Loop: Header=BB7_51 Depth=2
	s_andn2_b64 vcc, exec, s[42:43]
	s_cbranch_vccnz .LBB7_57
; %bb.56:                               ;   in Loop: Header=BB7_51 Depth=2
	v_div_scale_f64 v[9:10], s[42:43], v[5:6], v[5:6], v[7:8]
	v_rcp_f64_e32 v[11:12], v[9:10]
	v_fma_f64 v[25:26], -v[9:10], v[11:12], 1.0
	v_fma_f64 v[11:12], v[11:12], v[25:26], v[11:12]
	v_div_scale_f64 v[25:26], vcc, v[7:8], v[5:6], v[7:8]
	v_fma_f64 v[27:28], -v[9:10], v[11:12], 1.0
	v_fma_f64 v[11:12], v[11:12], v[27:28], v[11:12]
	v_mul_f64 v[27:28], v[25:26], v[11:12]
	v_fma_f64 v[9:10], -v[9:10], v[27:28], v[25:26]
	v_div_fmas_f64 v[9:10], v[9:10], v[11:12], v[27:28]
	v_div_fixup_f64 v[9:10], v[9:10], v[5:6], v[7:8]
	v_fma_f64 v[5:6], v[7:8], v[9:10], v[5:6]
	v_div_scale_f64 v[7:8], s[42:43], v[5:6], v[5:6], 1.0
	v_rcp_f64_e32 v[11:12], v[7:8]
	v_fma_f64 v[25:26], -v[7:8], v[11:12], 1.0
	v_fma_f64 v[11:12], v[11:12], v[25:26], v[11:12]
	v_div_scale_f64 v[25:26], vcc, 1.0, v[5:6], 1.0
	v_fma_f64 v[27:28], -v[7:8], v[11:12], 1.0
	v_fma_f64 v[11:12], v[11:12], v[27:28], v[11:12]
	v_mul_f64 v[27:28], v[25:26], v[11:12]
	v_fma_f64 v[7:8], -v[7:8], v[27:28], v[25:26]
	v_div_fmas_f64 v[7:8], v[7:8], v[11:12], v[27:28]
	s_waitcnt lgkmcnt(0)
	v_fma_f64 v[11:12], v[9:10], v[3:4], v[1:2]
	v_fma_f64 v[1:2], -v[9:10], v[1:2], v[3:4]
	v_div_fixup_f64 v[5:6], v[7:8], v[5:6], 1.0
	v_mul_f64 v[9:10], v[5:6], v[11:12]
	v_mul_f64 v[11:12], v[1:2], v[5:6]
.LBB7_57:                               ;   in Loop: Header=BB7_51 Depth=2
	ds_write_b128 v21, v[9:12]
.LBB7_58:                               ;   in Loop: Header=BB7_51 Depth=2
	s_or_b64 exec, exec, s[2:3]
	v_cmp_lt_u32_e32 vcc, s44, v0
	v_cmp_ge_i32_e64 s[2:3], s46, v24
	s_and_b64 s[42:43], s[40:41], vcc
	s_and_b64 s[42:43], s[42:43], s[2:3]
	s_waitcnt lgkmcnt(0)
	s_barrier
	s_and_saveexec_b64 s[2:3], s[42:43]
	s_cbranch_execz .LBB7_49
; %bb.59:                               ;   in Loop: Header=BB7_51 Depth=2
	global_load_dwordx4 v[1:4], v[19:20], off offset:-8
	v_mov_b32_e32 v5, s45
	ds_read_b128 v[5:8], v5
	s_waitcnt vmcnt(0) lgkmcnt(0)
	v_mul_f64 v[9:10], v[3:4], v[7:8]
	v_mul_f64 v[7:8], v[1:2], v[7:8]
	v_fma_f64 v[9:10], v[1:2], v[5:6], -v[9:10]
	v_fma_f64 v[5:6], v[3:4], v[5:6], v[7:8]
	ds_read_b128 v[1:4], v21
	s_waitcnt lgkmcnt(0)
	v_add_f64 v[1:2], v[1:2], -v[9:10]
	v_add_f64 v[3:4], v[3:4], -v[5:6]
	ds_write_b128 v21, v[1:4]
	s_branch .LBB7_49
.LBB7_60:                               ;   in Loop: Header=BB7_46 Depth=1
	s_add_i32 s54, s53, 0x200
	s_cmp_ge_i32 s54, s25
	s_cselect_b64 s[2:3], -1, 0
	s_and_b64 vcc, exec, s[2:3]
	s_waitcnt lgkmcnt(0)
	s_barrier
	s_cbranch_vccnz .LBB7_80
; %bb.61:                               ;   in Loop: Header=BB7_46 Depth=1
	v_mad_i64_i32 v[1:2], s[40:41], v22, -16, v[15:16]
	s_mov_b64 s[40:41], 0
	v_mov_b32_e32 v9, v0
	s_mov_b32 s55, s54
                                        ; implicit-def: $sgpr42_sgpr43
	s_branch .LBB7_64
.LBB7_62:                               ;   in Loop: Header=BB7_64 Depth=2
	v_mad_u64_u32 v[7:8], s[46:47], s20, v10, 0
	s_addk_i32 s55, 0x200
	s_cmp_ge_i32 s55, s25
	v_mad_u64_u32 v[10:11], s[46:47], s21, v10, v[8:9]
	v_mov_b32_e32 v11, s33
	s_cselect_b64 s[46:47], -1, 0
	v_mov_b32_e32 v8, v10
	v_lshlrev_b64 v[7:8], 4, v[7:8]
	v_mov_b32_e32 v12, s52
	v_add_co_u32_e32 v10, vcc, s24, v7
	v_addc_co_u32_e32 v11, vcc, v11, v8, vcc
	global_load_dwordx4 v[17:20], v[10:11], off
	v_add_co_u32_e32 v1, vcc, s51, v1
	s_andn2_b64 s[42:43], s[42:43], exec
	s_and_b64 s[46:47], s[46:47], exec
	v_addc_co_u32_e32 v2, vcc, v2, v12, vcc
	s_or_b64 s[42:43], s[42:43], s[46:47]
	s_waitcnt vmcnt(0)
	v_add_f64 v[5:6], v[17:18], -v[5:6]
	v_add_f64 v[7:8], v[19:20], -v[3:4]
	global_store_dwordx4 v[10:11], v[5:8], off
.LBB7_63:                               ;   in Loop: Header=BB7_64 Depth=2
	s_or_b64 exec, exec, s[44:45]
	s_and_b64 s[44:45], exec, s[42:43]
	s_or_b64 s[40:41], s[44:45], s[40:41]
	s_andn2_b64 exec, exec, s[40:41]
	s_cbranch_execz .LBB7_79
.LBB7_64:                               ;   Parent Loop BB7_46 Depth=1
                                        ; =>  This Loop Header: Depth=2
                                        ;       Child Loop BB7_67 Depth 3
	v_add_u32_e32 v10, s55, v0
	v_cmp_gt_i32_e32 vcc, s25, v10
	s_or_b64 s[42:43], s[42:43], exec
	s_and_saveexec_b64 s[44:45], vcc
	s_cbranch_execz .LBB7_63
; %bb.65:                               ;   in Loop: Header=BB7_64 Depth=2
	v_mov_b32_e32 v3, 0
	v_mov_b32_e32 v5, 0
	;; [unrolled: 1-line block ×3, first 2 shown]
	v_subrev_u32_e32 v11, s26, v10
	v_add_u32_e32 v12, 0x1ff, v9
	v_add_u32_e32 v9, 0x200, v9
	v_mov_b32_e32 v4, 0
	s_mov_b32 s56, 0
	s_movk_i32 s57, 0x2000
	v_mov_b32_e32 v6, 0
	v_mov_b32_e32 v7, v1
	s_branch .LBB7_67
.LBB7_66:                               ;   in Loop: Header=BB7_67 Depth=3
	s_or_b64 exec, exec, s[46:47]
	s_add_i32 s56, s56, 2
	s_add_i32 s57, s57, 32
	v_add_co_u32_e32 v7, vcc, 32, v7
	s_cmpk_eq_i32 s56, 0x200
	v_addc_co_u32_e32 v8, vcc, 0, v8, vcc
	s_cbranch_scc1 .LBB7_62
.LBB7_67:                               ;   Parent Loop BB7_46 Depth=1
                                        ;     Parent Loop BB7_64 Depth=2
                                        ; =>    This Inner Loop Header: Depth=3
	v_cmp_ne_u32_e32 vcc, s56, v9
	s_add_i32 s58, s53, s56
	s_or_b64 s[46:47], s[38:39], vcc
	s_and_saveexec_b64 s[48:49], s[46:47]
	s_xor_b64 s[46:47], exec, s[48:49]
	s_cbranch_execz .LBB7_71
; %bb.68:                               ;   in Loop: Header=BB7_67 Depth=3
	s_cmp_lt_i32 s58, s25
	s_cselect_b64 s[48:49], -1, 0
	v_cmp_ge_i32_e32 vcc, s58, v11
	s_and_b64 s[60:61], s[48:49], vcc
	s_and_saveexec_b64 s[48:49], s[60:61]
	s_cbranch_execz .LBB7_70
; %bb.69:                               ;   in Loop: Header=BB7_67 Depth=3
	global_load_dwordx4 v[17:20], v[7:8], off offset:-16
	v_mov_b32_e32 v24, s57
	ds_read_b128 v[24:27], v24
	s_waitcnt vmcnt(0) lgkmcnt(0)
	v_mul_f64 v[28:29], v[19:20], v[26:27]
	v_mul_f64 v[26:27], v[17:18], v[26:27]
	v_fma_f64 v[17:18], v[17:18], v[24:25], -v[28:29]
	v_fma_f64 v[19:20], v[19:20], v[24:25], v[26:27]
	v_add_f64 v[5:6], v[5:6], v[17:18]
	v_add_f64 v[3:4], v[3:4], v[19:20]
.LBB7_70:                               ;   in Loop: Header=BB7_67 Depth=3
	s_or_b64 exec, exec, s[48:49]
.LBB7_71:                               ;   in Loop: Header=BB7_67 Depth=3
	s_andn2_saveexec_b64 s[46:47], s[46:47]
	s_cbranch_execz .LBB7_73
; %bb.72:                               ;   in Loop: Header=BB7_67 Depth=3
	v_mov_b32_e32 v17, s57
	ds_read_b128 v[17:20], v17
	s_waitcnt lgkmcnt(0)
	v_add_f64 v[5:6], v[5:6], v[17:18]
	v_add_f64 v[3:4], v[3:4], v[19:20]
.LBB7_73:                               ;   in Loop: Header=BB7_67 Depth=3
	s_or_b64 exec, exec, s[46:47]
	v_cmp_ne_u32_e32 vcc, s56, v12
	s_or_b64 s[46:47], s[38:39], vcc
	s_and_saveexec_b64 s[48:49], s[46:47]
	s_xor_b64 s[46:47], exec, s[48:49]
	s_cbranch_execz .LBB7_77
; %bb.74:                               ;   in Loop: Header=BB7_67 Depth=3
	s_add_i32 s58, s58, 1
	s_cmp_lt_i32 s58, s25
	s_cselect_b64 s[48:49], -1, 0
	v_cmp_ge_i32_e32 vcc, s58, v11
	s_and_b64 s[58:59], s[48:49], vcc
	s_and_saveexec_b64 s[48:49], s[58:59]
	s_cbranch_execz .LBB7_76
; %bb.75:                               ;   in Loop: Header=BB7_67 Depth=3
	global_load_dwordx4 v[17:20], v[7:8], off
	v_mov_b32_e32 v24, s57
	ds_read_b128 v[24:27], v24 offset:16
	s_waitcnt vmcnt(0) lgkmcnt(0)
	v_mul_f64 v[28:29], v[19:20], v[26:27]
	v_mul_f64 v[26:27], v[17:18], v[26:27]
	v_fma_f64 v[17:18], v[17:18], v[24:25], -v[28:29]
	v_fma_f64 v[19:20], v[19:20], v[24:25], v[26:27]
	v_add_f64 v[5:6], v[5:6], v[17:18]
	v_add_f64 v[3:4], v[3:4], v[19:20]
.LBB7_76:                               ;   in Loop: Header=BB7_67 Depth=3
	s_or_b64 exec, exec, s[48:49]
.LBB7_77:                               ;   in Loop: Header=BB7_67 Depth=3
	s_andn2_saveexec_b64 s[46:47], s[46:47]
	s_cbranch_execz .LBB7_66
; %bb.78:                               ;   in Loop: Header=BB7_67 Depth=3
	v_mov_b32_e32 v17, s57
	ds_read_b128 v[17:20], v17 offset:16
	s_waitcnt lgkmcnt(0)
	v_add_f64 v[5:6], v[5:6], v[17:18]
	v_add_f64 v[3:4], v[3:4], v[19:20]
	s_branch .LBB7_66
.LBB7_79:                               ;   in Loop: Header=BB7_46 Depth=1
	s_or_b64 exec, exec, s[40:41]
.LBB7_80:                               ;   in Loop: Header=BB7_46 Depth=1
	s_and_saveexec_b64 s[40:41], s[0:1]
	s_cbranch_execz .LBB7_45
; %bb.81:                               ;   in Loop: Header=BB7_46 Depth=1
	v_mad_u64_u32 v[5:6], s[0:1], s20, v23, 0
	v_mov_b32_e32 v1, v6
	v_mad_u64_u32 v[6:7], s[0:1], s21, v23, v[1:2]
	ds_read2_b64 v[1:4], v21 offset1:1
	v_mov_b32_e32 v7, s33
	v_lshlrev_b64 v[5:6], 4, v[5:6]
	v_add_co_u32_e32 v5, vcc, s24, v5
	v_addc_co_u32_e32 v6, vcc, v7, v6, vcc
	s_waitcnt lgkmcnt(0)
	global_store_dwordx4 v[5:6], v[1:4], off
	s_branch .LBB7_45
.LBB7_82:
	s_mov_b64 s[0:1], 0
.LBB7_83:
	s_andn2_b64 vcc, exec, s[0:1]
	s_cbranch_vccnz .LBB7_165
; %bb.84:
	s_mov_b64 s[0:1], -1
	s_and_b64 vcc, exec, s[36:37]
	s_cbranch_vccz .LBB7_125
; %bb.85:
	s_andn2_b64 vcc, exec, s[6:7]
	s_cbranch_vccnz .LBB7_124
; %bb.86:
	s_lshl_b64 s[16:17], s[12:13], 13
	s_lshl_b64 s[18:19], s[12:13], 4
	s_add_u32 s2, s28, s30
	s_addc_u32 s3, s29, s31
	s_add_u32 s0, s8, s2
	s_addc_u32 s1, s9, s3
	;; [unrolled: 2-line block ×3, first 2 shown]
	s_lshl_b64 s[0:1], s[12:13], 5
	s_add_u32 s2, s2, s18
	s_addc_u32 s3, s3, s19
	s_add_u32 s2, s8, s2
	s_addc_u32 s3, s9, s3
	s_add_u32 s36, s2, -8
	s_addc_u32 s37, s3, -1
	s_add_u32 s27, s0, 0xffffffe0
	v_lshlrev_b32_e32 v15, 4, v0
	v_or_b32_e32 v16, 0x200, v0
	s_addc_u32 s60, s1, -1
	s_mov_b32 s61, 0
	s_mov_b64 s[38:39], 0
	s_xor_b64 s[40:41], s[4:5], -1
	v_mov_b32_e32 v14, 0
	s_branch .LBB7_88
.LBB7_87:                               ;   in Loop: Header=BB7_88 Depth=1
	s_or_b64 exec, exec, s[42:43]
	s_add_u32 s34, s34, s16
	s_addc_u32 s35, s35, s17
	s_add_u32 s22, s22, s16
	s_addc_u32 s23, s23, s17
	s_add_u32 s38, s38, 0xfffffe00
	s_addc_u32 s39, s39, -1
	s_add_u32 s36, s36, s16
	v_add_u32_e32 v16, 0x200, v16
	s_addc_u32 s37, s37, s17
	s_and_b64 vcc, exec, s[2:3]
	s_mov_b32 s61, s62
	s_waitcnt vmcnt(0)
	s_barrier
	s_cbranch_vccnz .LBB7_124
.LBB7_88:                               ; =>This Loop Header: Depth=1
                                        ;     Child Loop BB7_92 Depth 2
                                        ;     Child Loop BB7_106 Depth 2
                                        ;       Child Loop BB7_109 Depth 3
	v_add_u32_e32 v17, s61, v0
	v_cmp_le_i32_e32 vcc, s25, v17
	v_cmp_gt_i32_e64 s[0:1], s25, v17
	s_and_saveexec_b64 s[42:43], s[0:1]
	s_cbranch_execz .LBB7_90
; %bb.89:                               ;   in Loop: Header=BB7_88 Depth=1
	v_mad_u64_u32 v[1:2], s[2:3], s20, v17, 0
	v_mad_u64_u32 v[2:3], s[2:3], s21, v17, v[2:3]
	v_mov_b32_e32 v3, s33
	v_lshlrev_b64 v[1:2], 4, v[1:2]
	v_add_co_u32_e64 v1, s[2:3], s24, v1
	v_addc_co_u32_e64 v2, s[2:3], v3, v2, s[2:3]
	global_load_dwordx4 v[1:4], v[1:2], off
	s_waitcnt vmcnt(0)
	ds_write2_b64 v15, v[1:2], v[3:4] offset1:1
.LBB7_90:                               ;   in Loop: Header=BB7_88 Depth=1
	s_or_b64 exec, exec, s[42:43]
	v_subrev_u32_e32 v18, s26, v17
	s_mov_b32 s50, 0
	s_xor_b64 s[42:43], vcc, -1
	s_mov_b64 s[44:45], s[22:23]
	s_mov_b64 s[46:47], s[34:35]
	v_mov_b32_e32 v13, v0
	s_mov_b32 s51, 0
	s_waitcnt lgkmcnt(0)
	s_barrier
	s_branch .LBB7_92
.LBB7_91:                               ;   in Loop: Header=BB7_92 Depth=2
                                        ; implicit-def: $sgpr51
                                        ; implicit-def: $sgpr50
                                        ; implicit-def: $sgpr46_sgpr47
                                        ; implicit-def: $sgpr44_sgpr45
	s_cbranch_execnz .LBB7_102
.LBB7_92:                               ;   Parent Loop BB7_88 Depth=1
                                        ; =>  This Inner Loop Header: Depth=2
	s_add_i32 s52, s61, s51
	s_cmp_ge_i32 s52, s25
	s_cbranch_scc1 .LBB7_91
; %bb.93:                               ;   in Loop: Header=BB7_92 Depth=2
	v_cmp_eq_u32_e32 vcc, s51, v0
	s_and_b64 s[48:49], s[40:41], vcc
	s_and_saveexec_b64 s[2:3], s[48:49]
	s_cbranch_execz .LBB7_99
; %bb.94:                               ;   in Loop: Header=BB7_92 Depth=2
	global_load_dwordx4 v[5:8], v14, s[46:47]
	ds_read_b128 v[1:4], v15
	s_mov_b64 s[48:49], -1
                                        ; implicit-def: $vgpr9_vgpr10
	s_waitcnt vmcnt(0)
	v_cmp_ngt_f64_e64 s[54:55], |v[5:6]|, |v[7:8]|
	s_and_b64 vcc, exec, s[54:55]
	s_cbranch_vccz .LBB7_96
; %bb.95:                               ;   in Loop: Header=BB7_92 Depth=2
	v_div_scale_f64 v[9:10], s[48:49], v[7:8], v[7:8], v[5:6]
	v_rcp_f64_e32 v[11:12], v[9:10]
	v_fma_f64 v[19:20], -v[9:10], v[11:12], 1.0
	v_fma_f64 v[11:12], v[11:12], v[19:20], v[11:12]
	v_div_scale_f64 v[19:20], vcc, v[5:6], v[7:8], v[5:6]
	v_fma_f64 v[21:22], -v[9:10], v[11:12], 1.0
	v_fma_f64 v[11:12], v[11:12], v[21:22], v[11:12]
	v_mul_f64 v[21:22], v[19:20], v[11:12]
	v_fma_f64 v[9:10], -v[9:10], v[21:22], v[19:20]
	v_div_fmas_f64 v[9:10], v[9:10], v[11:12], v[21:22]
	v_div_fixup_f64 v[9:10], v[9:10], v[7:8], v[5:6]
	v_fma_f64 v[11:12], v[5:6], v[9:10], v[7:8]
	v_div_scale_f64 v[19:20], s[48:49], v[11:12], v[11:12], 1.0
	s_mov_b64 s[48:49], 0
	v_rcp_f64_e32 v[21:22], v[19:20]
	v_fma_f64 v[23:24], -v[19:20], v[21:22], 1.0
	v_fma_f64 v[21:22], v[21:22], v[23:24], v[21:22]
	v_div_scale_f64 v[23:24], vcc, 1.0, v[11:12], 1.0
	v_fma_f64 v[25:26], -v[19:20], v[21:22], 1.0
	v_fma_f64 v[21:22], v[21:22], v[25:26], v[21:22]
	v_mul_f64 v[25:26], v[23:24], v[21:22]
	v_fma_f64 v[19:20], -v[19:20], v[25:26], v[23:24]
	v_div_fmas_f64 v[19:20], v[19:20], v[21:22], v[25:26]
	s_waitcnt lgkmcnt(0)
	v_fma_f64 v[21:22], v[9:10], v[1:2], v[3:4]
	v_div_fixup_f64 v[11:12], v[19:20], v[11:12], 1.0
	v_fma_f64 v[19:20], v[9:10], v[3:4], -v[1:2]
	v_mul_f64 v[9:10], v[21:22], v[11:12]
	v_mul_f64 v[11:12], v[11:12], v[19:20]
.LBB7_96:                               ;   in Loop: Header=BB7_92 Depth=2
	s_andn2_b64 vcc, exec, s[48:49]
	s_cbranch_vccnz .LBB7_98
; %bb.97:                               ;   in Loop: Header=BB7_92 Depth=2
	v_div_scale_f64 v[9:10], s[48:49], v[5:6], v[5:6], v[7:8]
	v_rcp_f64_e32 v[11:12], v[9:10]
	v_fma_f64 v[19:20], -v[9:10], v[11:12], 1.0
	v_fma_f64 v[11:12], v[11:12], v[19:20], v[11:12]
	v_div_scale_f64 v[19:20], vcc, v[7:8], v[5:6], v[7:8]
	v_fma_f64 v[21:22], -v[9:10], v[11:12], 1.0
	v_fma_f64 v[11:12], v[11:12], v[21:22], v[11:12]
	v_mul_f64 v[21:22], v[19:20], v[11:12]
	v_fma_f64 v[9:10], -v[9:10], v[21:22], v[19:20]
	v_div_fmas_f64 v[9:10], v[9:10], v[11:12], v[21:22]
	v_div_fixup_f64 v[9:10], v[9:10], v[5:6], v[7:8]
	v_fma_f64 v[5:6], v[7:8], v[9:10], v[5:6]
	v_div_scale_f64 v[7:8], s[48:49], v[5:6], v[5:6], 1.0
	v_rcp_f64_e32 v[11:12], v[7:8]
	v_fma_f64 v[19:20], -v[7:8], v[11:12], 1.0
	v_fma_f64 v[11:12], v[11:12], v[19:20], v[11:12]
	v_div_scale_f64 v[19:20], vcc, 1.0, v[5:6], 1.0
	v_fma_f64 v[21:22], -v[7:8], v[11:12], 1.0
	v_fma_f64 v[11:12], v[11:12], v[21:22], v[11:12]
	v_mul_f64 v[21:22], v[19:20], v[11:12]
	v_fma_f64 v[7:8], -v[7:8], v[21:22], v[19:20]
	v_div_fmas_f64 v[7:8], v[7:8], v[11:12], v[21:22]
	s_waitcnt lgkmcnt(0)
	v_fma_f64 v[11:12], v[9:10], v[3:4], v[1:2]
	v_fma_f64 v[1:2], -v[9:10], v[1:2], v[3:4]
	v_div_fixup_f64 v[5:6], v[7:8], v[5:6], 1.0
	v_mul_f64 v[9:10], v[5:6], v[11:12]
	v_mul_f64 v[11:12], v[1:2], v[5:6]
.LBB7_98:                               ;   in Loop: Header=BB7_92 Depth=2
	ds_write_b128 v15, v[9:12]
.LBB7_99:                               ;   in Loop: Header=BB7_92 Depth=2
	s_or_b64 exec, exec, s[2:3]
	v_cmp_lt_u32_e32 vcc, s51, v0
	v_cmp_ge_i32_e64 s[2:3], s52, v18
	s_and_b64 s[48:49], s[42:43], vcc
	s_and_b64 s[48:49], s[48:49], s[2:3]
	s_waitcnt lgkmcnt(0)
	s_barrier
	s_and_saveexec_b64 s[2:3], s[48:49]
	s_cbranch_execz .LBB7_101
; %bb.100:                              ;   in Loop: Header=BB7_92 Depth=2
	v_lshlrev_b64 v[1:2], 4, v[13:14]
	v_mov_b32_e32 v3, s45
	v_add_co_u32_e32 v1, vcc, s44, v1
	v_addc_co_u32_e32 v2, vcc, v3, v2, vcc
	global_load_dwordx4 v[1:4], v[1:2], off offset:-8
	v_mov_b32_e32 v5, s50
	ds_read_b128 v[5:8], v5
	s_waitcnt vmcnt(0) lgkmcnt(0)
	v_mul_f64 v[9:10], v[3:4], v[7:8]
	v_mul_f64 v[7:8], v[1:2], v[7:8]
	v_fma_f64 v[9:10], v[1:2], v[5:6], -v[9:10]
	v_fma_f64 v[5:6], v[3:4], v[5:6], v[7:8]
	ds_read_b128 v[1:4], v15
	s_waitcnt lgkmcnt(0)
	v_add_f64 v[1:2], v[1:2], -v[9:10]
	v_add_f64 v[3:4], v[3:4], -v[5:6]
	ds_write_b128 v15, v[1:4]
.LBB7_101:                              ;   in Loop: Header=BB7_92 Depth=2
	s_or_b64 exec, exec, s[2:3]
	s_add_i32 s51, s51, 1
	s_add_i32 s50, s50, 16
	s_add_u32 s46, s46, s18
	s_addc_u32 s47, s47, s19
	s_add_u32 s44, s44, s18
	s_addc_u32 s45, s45, s19
	s_cmpk_eq_i32 s51, 0x200
	v_add_u32_e32 v13, -1, v13
	s_cselect_b64 s[2:3], -1, 0
	s_and_b64 vcc, exec, s[2:3]
	s_cbranch_vccz .LBB7_92
.LBB7_102:                              ;   in Loop: Header=BB7_88 Depth=1
	s_add_i32 s62, s61, 0x200
	s_cmp_ge_i32 s62, s25
	s_cselect_b64 s[2:3], -1, 0
	s_and_b64 vcc, exec, s[2:3]
	s_waitcnt lgkmcnt(0)
	s_barrier
	s_cbranch_vccnz .LBB7_122
; %bb.103:                              ;   in Loop: Header=BB7_88 Depth=1
	v_ashrrev_i32_e32 v2, 31, v16
	v_mov_b32_e32 v3, s39
	v_add_co_u32_e32 v1, vcc, s38, v16
	v_addc_co_u32_e32 v2, vcc, v3, v2, vcc
	v_lshlrev_b64 v[1:2], 4, v[1:2]
	s_mov_b64 s[42:43], 0
	s_mov_b64 s[44:45], s[22:23]
	v_mov_b32_e32 v7, v0
	s_mov_b64 s[48:49], s[36:37]
	s_mov_b32 s63, s62
                                        ; implicit-def: $sgpr46_sgpr47
	s_branch .LBB7_106
.LBB7_104:                              ;   in Loop: Header=BB7_106 Depth=2
	v_mad_u64_u32 v[9:10], s[52:53], s20, v8, 0
	s_addk_i32 s63, 0x200
	s_add_u32 s48, s48, 0x2000
	v_mad_u64_u32 v[10:11], s[52:53], s21, v8, v[10:11]
	v_mov_b32_e32 v11, s33
	s_addc_u32 s49, s49, 0
	v_lshlrev_b64 v[8:9], 4, v[9:10]
	s_add_u32 s44, s44, 0x2000
	v_add_co_u32_e32 v12, vcc, s24, v8
	v_addc_co_u32_e32 v13, vcc, v11, v9, vcc
	global_load_dwordx4 v[8:11], v[12:13], off
	s_addc_u32 s45, s45, 0
	s_cmp_ge_i32 s63, s25
	s_cselect_b64 s[52:53], -1, 0
	s_andn2_b64 s[46:47], s[46:47], exec
	s_and_b64 s[52:53], s[52:53], exec
	s_or_b64 s[46:47], s[46:47], s[52:53]
	s_waitcnt vmcnt(0)
	v_add_f64 v[8:9], v[8:9], -v[5:6]
	v_add_f64 v[10:11], v[10:11], -v[3:4]
	global_store_dwordx4 v[12:13], v[8:11], off
.LBB7_105:                              ;   in Loop: Header=BB7_106 Depth=2
	s_or_b64 exec, exec, s[50:51]
	s_and_b64 s[50:51], exec, s[46:47]
	s_or_b64 s[42:43], s[50:51], s[42:43]
	s_andn2_b64 exec, exec, s[42:43]
	s_cbranch_execz .LBB7_121
.LBB7_106:                              ;   Parent Loop BB7_88 Depth=1
                                        ; =>  This Loop Header: Depth=2
                                        ;       Child Loop BB7_109 Depth 3
	v_add_u32_e32 v8, s63, v0
	v_cmp_gt_i32_e32 vcc, s25, v8
	s_or_b64 s[46:47], s[46:47], exec
	s_and_saveexec_b64 s[50:51], vcc
	s_cbranch_execz .LBB7_105
; %bb.107:                              ;   in Loop: Header=BB7_106 Depth=2
	v_mov_b32_e32 v3, 0
	v_mov_b32_e32 v5, 0
	v_subrev_u32_e32 v9, s26, v8
	v_add_u32_e32 v10, 0x1ff, v7
	v_add_u32_e32 v7, 0x200, v7
	v_mov_b32_e32 v4, 0
	s_mov_b32 s64, 0
	s_mov_b64 s[52:53], s[44:45]
	s_mov_b64 s[54:55], s[48:49]
	v_mov_b32_e32 v6, 0
	s_mov_b32 s65, 0
	s_branch .LBB7_109
.LBB7_108:                              ;   in Loop: Header=BB7_109 Depth=3
	s_or_b64 exec, exec, s[56:57]
	s_add_i32 s65, s65, 2
	s_add_u32 s54, s54, s27
	s_addc_u32 s55, s55, s60
	s_add_i32 s64, s64, 32
	s_add_u32 s52, s52, s27
	s_addc_u32 s53, s53, s60
	s_cmpk_eq_i32 s65, 0x200
	s_cbranch_scc1 .LBB7_104
.LBB7_109:                              ;   Parent Loop BB7_88 Depth=1
                                        ;     Parent Loop BB7_106 Depth=2
                                        ; =>    This Inner Loop Header: Depth=3
	v_cmp_ne_u32_e32 vcc, s65, v7
	s_add_i32 s66, s61, s65
	s_or_b64 s[56:57], s[40:41], vcc
	s_and_saveexec_b64 s[58:59], s[56:57]
	s_xor_b64 s[56:57], exec, s[58:59]
	s_cbranch_execz .LBB7_113
; %bb.110:                              ;   in Loop: Header=BB7_109 Depth=3
	s_cmp_lt_i32 s66, s25
	s_cselect_b64 s[58:59], -1, 0
	v_cmp_ge_i32_e32 vcc, s66, v9
	s_and_b64 s[68:69], s[58:59], vcc
	s_and_saveexec_b64 s[58:59], s[68:69]
	s_cbranch_execz .LBB7_112
; %bb.111:                              ;   in Loop: Header=BB7_109 Depth=3
	v_mov_b32_e32 v12, s53
	v_add_co_u32_e32 v11, vcc, s52, v1
	v_addc_co_u32_e32 v12, vcc, v12, v2, vcc
	global_load_dwordx4 v[18:21], v[11:12], off offset:-8
	v_mov_b32_e32 v11, s64
	ds_read_b128 v[22:25], v11
	s_waitcnt vmcnt(0) lgkmcnt(0)
	v_mul_f64 v[11:12], v[20:21], v[24:25]
	v_mul_f64 v[24:25], v[18:19], v[24:25]
	v_fma_f64 v[11:12], v[18:19], v[22:23], -v[11:12]
	v_fma_f64 v[18:19], v[20:21], v[22:23], v[24:25]
	v_add_f64 v[5:6], v[5:6], v[11:12]
	v_add_f64 v[3:4], v[3:4], v[18:19]
.LBB7_112:                              ;   in Loop: Header=BB7_109 Depth=3
	s_or_b64 exec, exec, s[58:59]
.LBB7_113:                              ;   in Loop: Header=BB7_109 Depth=3
	s_andn2_saveexec_b64 s[56:57], s[56:57]
	s_cbranch_execz .LBB7_115
; %bb.114:                              ;   in Loop: Header=BB7_109 Depth=3
	v_mov_b32_e32 v11, s64
	ds_read_b128 v[18:21], v11
	s_waitcnt lgkmcnt(0)
	v_add_f64 v[5:6], v[5:6], v[18:19]
	v_add_f64 v[3:4], v[3:4], v[20:21]
.LBB7_115:                              ;   in Loop: Header=BB7_109 Depth=3
	s_or_b64 exec, exec, s[56:57]
	v_cmp_ne_u32_e32 vcc, s65, v10
	s_or_b64 s[56:57], s[40:41], vcc
	s_and_saveexec_b64 s[58:59], s[56:57]
	s_xor_b64 s[56:57], exec, s[58:59]
	s_cbranch_execz .LBB7_119
; %bb.116:                              ;   in Loop: Header=BB7_109 Depth=3
	s_add_i32 s66, s66, 1
	s_cmp_lt_i32 s66, s25
	s_cselect_b64 s[58:59], -1, 0
	v_cmp_ge_i32_e32 vcc, s66, v9
	s_and_b64 s[66:67], s[58:59], vcc
	s_and_saveexec_b64 s[58:59], s[66:67]
	s_cbranch_execz .LBB7_118
; %bb.117:                              ;   in Loop: Header=BB7_109 Depth=3
	v_mov_b32_e32 v12, s55
	v_add_co_u32_e32 v11, vcc, s54, v1
	v_addc_co_u32_e32 v12, vcc, v12, v2, vcc
	global_load_dwordx4 v[18:21], v[11:12], off offset:-8
	v_mov_b32_e32 v11, s64
	ds_read_b128 v[22:25], v11 offset:16
	s_waitcnt vmcnt(0) lgkmcnt(0)
	v_mul_f64 v[11:12], v[20:21], v[24:25]
	v_mul_f64 v[24:25], v[18:19], v[24:25]
	v_fma_f64 v[11:12], v[18:19], v[22:23], -v[11:12]
	v_fma_f64 v[18:19], v[20:21], v[22:23], v[24:25]
	v_add_f64 v[5:6], v[5:6], v[11:12]
	v_add_f64 v[3:4], v[3:4], v[18:19]
.LBB7_118:                              ;   in Loop: Header=BB7_109 Depth=3
	s_or_b64 exec, exec, s[58:59]
.LBB7_119:                              ;   in Loop: Header=BB7_109 Depth=3
	s_andn2_saveexec_b64 s[56:57], s[56:57]
	s_cbranch_execz .LBB7_108
; %bb.120:                              ;   in Loop: Header=BB7_109 Depth=3
	v_mov_b32_e32 v11, s64
	ds_read_b128 v[18:21], v11 offset:16
	s_waitcnt lgkmcnt(0)
	v_add_f64 v[5:6], v[5:6], v[18:19]
	v_add_f64 v[3:4], v[3:4], v[20:21]
	s_branch .LBB7_108
.LBB7_121:                              ;   in Loop: Header=BB7_88 Depth=1
	s_or_b64 exec, exec, s[42:43]
.LBB7_122:                              ;   in Loop: Header=BB7_88 Depth=1
	s_and_saveexec_b64 s[42:43], s[0:1]
	s_cbranch_execz .LBB7_87
; %bb.123:                              ;   in Loop: Header=BB7_88 Depth=1
	v_mad_u64_u32 v[5:6], s[0:1], s20, v17, 0
	v_mov_b32_e32 v1, v6
	v_mad_u64_u32 v[6:7], s[0:1], s21, v17, v[1:2]
	ds_read2_b64 v[1:4], v15 offset1:1
	v_mov_b32_e32 v7, s33
	v_lshlrev_b64 v[5:6], 4, v[5:6]
	v_add_co_u32_e32 v5, vcc, s24, v5
	v_addc_co_u32_e32 v6, vcc, v7, v6, vcc
	s_waitcnt lgkmcnt(0)
	global_store_dwordx4 v[5:6], v[1:4], off
	s_branch .LBB7_87
.LBB7_124:
	s_mov_b64 s[0:1], 0
.LBB7_125:
	s_andn2_b64 vcc, exec, s[0:1]
	s_cbranch_vccnz .LBB7_165
; %bb.126:
	s_andn2_b64 vcc, exec, s[6:7]
	s_cbranch_vccnz .LBB7_165
; %bb.127:
	s_add_i32 s34, s25, 0xfffffe00
	s_add_i32 s6, s25, -1
	s_add_u32 s2, s28, s30
	s_addc_u32 s3, s29, s31
	s_ashr_i32 s27, s26, 31
	s_lshl_b64 s[0:1], s[26:27], 4
	s_add_u32 s2, s2, s0
	s_addc_u32 s3, s3, s1
	s_ashr_i32 s7, s6, 31
	s_lshl_b64 s[0:1], s[6:7], 4
	s_sub_u32 s0, s2, s0
	s_subb_u32 s1, s3, s1
	s_add_u32 s16, s8, s0
	s_addc_u32 s17, s9, s1
	s_lshl_b64 s[18:19], s[12:13], 4
	s_add_u32 s7, s18, 16
	s_addc_u32 s42, s19, 0
	s_or_b32 s0, s0, 8
	s_add_u32 s43, s8, s0
	s_addc_u32 s44, s9, s1
	s_add_u32 s0, s10, s14
	s_addc_u32 s1, s11, s15
	;; [unrolled: 2-line block ×3, first 2 shown]
	s_ashr_i32 s3, s25, 31
	s_mov_b32 s2, s25
	s_lshl_b64 s[0:1], s[0:1], 4
	s_lshl_b64 s[2:3], s[2:3], 4
	s_sub_u32 s0, s0, s2
	s_subb_u32 s1, s1, s3
	s_add_u32 s0, s8, s0
	s_addc_u32 s1, s9, s1
	s_add_u32 s8, s0, 0x1ff8
	s_addc_u32 s9, s1, 0
	s_add_i32 s27, s25, 0xfffffe01
	s_add_u32 s10, s0, 0x1ff0
	s_addc_u32 s11, s1, 0
	s_add_u32 s45, s0, 0x2000
	v_mov_b32_e32 v1, 0x4000
	s_addc_u32 s46, s1, 0
	s_lshl_b64 s[0:1], s[12:13], 5
	v_lshl_or_b32 v18, v0, 4, v1
	v_add_u32_e32 v1, s25, v0
	s_add_u32 s47, s0, 0xffffffe0
	v_add_u32_e32 v13, 0xfffffe00, v1
	v_add_u32_e32 v19, 0xfffffc00, v1
	s_addc_u32 s48, s1, -1
	v_mov_b32_e32 v15, 0
	s_xor_b64 s[4:5], s[4:5], -1
	s_branch .LBB7_129
.LBB7_128:                              ;   in Loop: Header=BB7_129 Depth=1
	s_or_b64 exec, exec, s[12:13]
	s_addk_i32 s6, 0xfe00
	s_add_u32 s16, s16, 0x2000
	s_addc_u32 s17, s17, 0
	s_add_u32 s43, s43, 0x2000
	s_addc_u32 s44, s44, 0
	s_addk_i32 s25, 0xfe00
	s_add_u32 s8, s8, 0x2000
	s_addc_u32 s9, s9, 0
	s_addk_i32 s27, 0xfe00
	s_add_u32 s10, s10, 0x2000
	s_addc_u32 s11, s11, 0
	s_add_u32 s45, s45, 0x2000
	v_add_u32_e32 v13, 0xfffffe00, v13
	v_add_u32_e32 v19, 0xfffffe00, v19
	s_addc_u32 s46, s46, 0
	s_and_b64 vcc, exec, s[2:3]
	s_mov_b32 s34, s49
	s_waitcnt vmcnt(0)
	s_barrier
	s_cbranch_vccnz .LBB7_165
.LBB7_129:                              ; =>This Loop Header: Depth=1
                                        ;     Child Loop BB7_133 Depth 2
                                        ;     Child Loop BB7_147 Depth 2
                                        ;       Child Loop BB7_150 Depth 3
	v_add_u32_e32 v20, s34, v0
	v_cmp_gt_i32_e32 vcc, 0, v20
	v_cmp_lt_i32_e64 s[0:1], -1, v20
	s_and_saveexec_b64 s[12:13], s[0:1]
	s_cbranch_execz .LBB7_131
; %bb.130:                              ;   in Loop: Header=BB7_129 Depth=1
	v_mad_u64_u32 v[1:2], s[2:3], s20, v20, 0
	v_mad_u64_u32 v[2:3], s[2:3], s21, v20, v[2:3]
	v_mov_b32_e32 v3, s33
	v_lshlrev_b64 v[1:2], 4, v[1:2]
	v_add_co_u32_e64 v1, s[2:3], s24, v1
	v_addc_co_u32_e64 v2, s[2:3], v3, v2, s[2:3]
	global_load_dwordx4 v[1:4], v[1:2], off
	s_waitcnt vmcnt(0)
	ds_write2_b64 v18, v[1:2], v[3:4] offset1:1
.LBB7_131:                              ;   in Loop: Header=BB7_129 Depth=1
	s_or_b64 exec, exec, s[12:13]
	v_mov_b32_e32 v14, v15
	v_lshlrev_b64 v[1:2], 4, v[13:14]
	v_mov_b32_e32 v3, s44
	v_add_co_u32_e64 v16, s[2:3], s43, v1
	v_addc_co_u32_e64 v17, s[2:3], v3, v2, s[2:3]
	v_add_u32_e32 v14, s26, v20
	s_movk_i32 s28, 0x1ff
	s_movk_i32 s29, 0x5ff0
	s_xor_b64 s[12:13], vcc, -1
	s_mov_b32 s30, s6
	s_mov_b64 s[14:15], s[16:17]
	s_waitcnt lgkmcnt(0)
	s_barrier
	s_branch .LBB7_133
.LBB7_132:                              ;   in Loop: Header=BB7_133 Depth=2
                                        ; implicit-def: $sgpr28
                                        ; implicit-def: $sgpr29
                                        ; implicit-def: $sgpr14_sgpr15
                                        ; implicit-def: $sgpr30
                                        ; implicit-def: $vgpr16_vgpr17
	s_cbranch_execnz .LBB7_143
.LBB7_133:                              ;   Parent Loop BB7_129 Depth=1
                                        ; =>  This Inner Loop Header: Depth=2
	s_add_i32 s31, s6, s28
	s_addk_i32 s31, 0xfe01
	s_cmp_lt_i32 s31, 0
	s_cbranch_scc1 .LBB7_132
; %bb.134:                              ;   in Loop: Header=BB7_133 Depth=2
	v_cmp_eq_u32_e32 vcc, s28, v0
	s_and_b64 s[22:23], s[4:5], vcc
	s_and_saveexec_b64 s[2:3], s[22:23]
	s_cbranch_execz .LBB7_140
; %bb.135:                              ;   in Loop: Header=BB7_133 Depth=2
	s_mul_i32 s22, s42, s30
	s_mul_hi_u32 s23, s7, s30
	s_add_i32 s23, s23, s22
	s_mul_i32 s22, s7, s30
	s_add_u32 s22, s14, s22
	s_addc_u32 s23, s15, s23
	global_load_dwordx4 v[5:8], v15, s[22:23]
	ds_read_b128 v[1:4], v18
	s_mov_b64 s[22:23], -1
                                        ; implicit-def: $vgpr9_vgpr10
	s_waitcnt vmcnt(0)
	v_cmp_ngt_f64_e64 s[36:37], |v[5:6]|, |v[7:8]|
	s_and_b64 vcc, exec, s[36:37]
	s_cbranch_vccz .LBB7_137
; %bb.136:                              ;   in Loop: Header=BB7_133 Depth=2
	v_div_scale_f64 v[9:10], s[22:23], v[7:8], v[7:8], v[5:6]
	v_rcp_f64_e32 v[11:12], v[9:10]
	v_fma_f64 v[21:22], -v[9:10], v[11:12], 1.0
	v_fma_f64 v[11:12], v[11:12], v[21:22], v[11:12]
	v_div_scale_f64 v[21:22], vcc, v[5:6], v[7:8], v[5:6]
	v_fma_f64 v[23:24], -v[9:10], v[11:12], 1.0
	v_fma_f64 v[11:12], v[11:12], v[23:24], v[11:12]
	v_mul_f64 v[23:24], v[21:22], v[11:12]
	v_fma_f64 v[9:10], -v[9:10], v[23:24], v[21:22]
	v_div_fmas_f64 v[9:10], v[9:10], v[11:12], v[23:24]
	v_div_fixup_f64 v[9:10], v[9:10], v[7:8], v[5:6]
	v_fma_f64 v[11:12], v[5:6], v[9:10], v[7:8]
	v_div_scale_f64 v[21:22], s[22:23], v[11:12], v[11:12], 1.0
	s_mov_b64 s[22:23], 0
	v_rcp_f64_e32 v[23:24], v[21:22]
	v_fma_f64 v[25:26], -v[21:22], v[23:24], 1.0
	v_fma_f64 v[23:24], v[23:24], v[25:26], v[23:24]
	v_div_scale_f64 v[25:26], vcc, 1.0, v[11:12], 1.0
	v_fma_f64 v[27:28], -v[21:22], v[23:24], 1.0
	v_fma_f64 v[23:24], v[23:24], v[27:28], v[23:24]
	v_mul_f64 v[27:28], v[25:26], v[23:24]
	v_fma_f64 v[21:22], -v[21:22], v[27:28], v[25:26]
	v_div_fmas_f64 v[21:22], v[21:22], v[23:24], v[27:28]
	s_waitcnt lgkmcnt(0)
	v_fma_f64 v[23:24], v[9:10], v[1:2], v[3:4]
	v_div_fixup_f64 v[11:12], v[21:22], v[11:12], 1.0
	v_fma_f64 v[21:22], v[9:10], v[3:4], -v[1:2]
	v_mul_f64 v[9:10], v[23:24], v[11:12]
	v_mul_f64 v[11:12], v[11:12], v[21:22]
.LBB7_137:                              ;   in Loop: Header=BB7_133 Depth=2
	s_andn2_b64 vcc, exec, s[22:23]
	s_cbranch_vccnz .LBB7_139
; %bb.138:                              ;   in Loop: Header=BB7_133 Depth=2
	v_div_scale_f64 v[9:10], s[22:23], v[5:6], v[5:6], v[7:8]
	v_rcp_f64_e32 v[11:12], v[9:10]
	v_fma_f64 v[21:22], -v[9:10], v[11:12], 1.0
	v_fma_f64 v[11:12], v[11:12], v[21:22], v[11:12]
	v_div_scale_f64 v[21:22], vcc, v[7:8], v[5:6], v[7:8]
	v_fma_f64 v[23:24], -v[9:10], v[11:12], 1.0
	v_fma_f64 v[11:12], v[11:12], v[23:24], v[11:12]
	v_mul_f64 v[23:24], v[21:22], v[11:12]
	v_fma_f64 v[9:10], -v[9:10], v[23:24], v[21:22]
	v_div_fmas_f64 v[9:10], v[9:10], v[11:12], v[23:24]
	v_div_fixup_f64 v[9:10], v[9:10], v[5:6], v[7:8]
	v_fma_f64 v[5:6], v[7:8], v[9:10], v[5:6]
	v_div_scale_f64 v[7:8], s[22:23], v[5:6], v[5:6], 1.0
	v_rcp_f64_e32 v[11:12], v[7:8]
	v_fma_f64 v[21:22], -v[7:8], v[11:12], 1.0
	v_fma_f64 v[11:12], v[11:12], v[21:22], v[11:12]
	v_div_scale_f64 v[21:22], vcc, 1.0, v[5:6], 1.0
	v_fma_f64 v[23:24], -v[7:8], v[11:12], 1.0
	v_fma_f64 v[11:12], v[11:12], v[23:24], v[11:12]
	v_mul_f64 v[23:24], v[21:22], v[11:12]
	v_fma_f64 v[7:8], -v[7:8], v[23:24], v[21:22]
	v_div_fmas_f64 v[7:8], v[7:8], v[11:12], v[23:24]
	s_waitcnt lgkmcnt(0)
	v_fma_f64 v[11:12], v[9:10], v[3:4], v[1:2]
	v_fma_f64 v[1:2], -v[9:10], v[1:2], v[3:4]
	v_div_fixup_f64 v[5:6], v[7:8], v[5:6], 1.0
	v_mul_f64 v[9:10], v[5:6], v[11:12]
	v_mul_f64 v[11:12], v[1:2], v[5:6]
.LBB7_139:                              ;   in Loop: Header=BB7_133 Depth=2
	ds_write_b128 v18, v[9:12]
.LBB7_140:                              ;   in Loop: Header=BB7_133 Depth=2
	s_or_b64 exec, exec, s[2:3]
	v_cmp_gt_u32_e32 vcc, s28, v0
	v_cmp_le_i32_e64 s[2:3], s31, v14
	s_and_b64 s[22:23], s[12:13], vcc
	s_and_b64 s[22:23], s[22:23], s[2:3]
	s_waitcnt lgkmcnt(0)
	s_barrier
	s_and_saveexec_b64 s[2:3], s[22:23]
	s_cbranch_execz .LBB7_142
; %bb.141:                              ;   in Loop: Header=BB7_133 Depth=2
	v_mov_b32_e32 v1, s30
	v_mad_u64_u32 v[1:2], s[22:23], s18, v1, v[16:17]
	s_mul_i32 s22, s19, s30
	v_mov_b32_e32 v5, s29
	v_add_u32_e32 v2, s22, v2
	global_load_dwordx4 v[1:4], v[1:2], off offset:-8
	ds_read_b128 v[5:8], v5
	s_waitcnt vmcnt(0) lgkmcnt(0)
	v_mul_f64 v[9:10], v[3:4], v[7:8]
	v_mul_f64 v[7:8], v[1:2], v[7:8]
	v_fma_f64 v[9:10], v[1:2], v[5:6], -v[9:10]
	v_fma_f64 v[5:6], v[3:4], v[5:6], v[7:8]
	ds_read_b128 v[1:4], v18
	s_waitcnt lgkmcnt(0)
	v_add_f64 v[1:2], v[1:2], -v[9:10]
	v_add_f64 v[3:4], v[3:4], -v[5:6]
	ds_write_b128 v18, v[1:4]
.LBB7_142:                              ;   in Loop: Header=BB7_133 Depth=2
	s_or_b64 exec, exec, s[2:3]
	s_add_i32 s28, s28, -1
	s_add_i32 s29, s29, -16
	s_add_u32 s14, s14, 16
	s_addc_u32 s15, s15, 0
	s_add_i32 s30, s30, -1
	v_add_co_u32_e32 v16, vcc, 16, v16
	s_cmp_eq_u32 s28, -1
	v_addc_co_u32_e32 v17, vcc, 0, v17, vcc
	s_cselect_b64 s[2:3], -1, 0
	s_and_b64 vcc, exec, s[2:3]
	s_cbranch_vccz .LBB7_133
.LBB7_143:                              ;   in Loop: Header=BB7_129 Depth=1
	s_add_i32 s49, s34, 0xfffffe00
	s_cmp_lt_i32 s34, 1
	s_cselect_b64 s[2:3], -1, 0
	s_and_b64 vcc, exec, s[2:3]
	s_waitcnt lgkmcnt(0)
	s_barrier
	s_cbranch_vccnz .LBB7_163
; %bb.144:                              ;   in Loop: Header=BB7_129 Depth=1
	s_mul_i32 s12, s19, s34
	s_mul_hi_u32 s13, s18, s34
	s_add_i32 s13, s13, s12
	s_mul_i32 s12, s18, s34
	s_add_u32 s12, s45, s12
	s_addc_u32 s13, s46, s13
	s_mov_b64 s[14:15], 0
	v_mov_b32_e32 v14, v19
	v_mov_b32_e32 v7, v0
	s_mov_b32 s50, s49
                                        ; implicit-def: $sgpr22_sgpr23
	s_branch .LBB7_147
.LBB7_145:                              ;   in Loop: Header=BB7_147 Depth=2
	v_mad_u64_u32 v[5:6], s[30:31], s20, v8, 0
	s_add_i32 s34, s50, 0xfffffe00
	s_cmp_lt_i32 s50, 1
	v_mad_u64_u32 v[8:9], s[30:31], s21, v8, v[6:7]
	v_mov_b32_e32 v9, s33
	s_cselect_b64 s[30:31], -1, 0
	v_mov_b32_e32 v6, v8
	v_lshlrev_b64 v[5:6], 4, v[5:6]
	s_andn2_b64 s[22:23], s[22:23], exec
	v_add_co_u32_e32 v16, vcc, s24, v5
	v_addc_co_u32_e32 v17, vcc, v9, v6, vcc
	global_load_dwordx4 v[8:11], v[16:17], off
	s_and_b64 s[30:31], s[30:31], exec
	v_add_u32_e32 v14, 0xfffffe00, v14
	s_or_b64 s[22:23], s[22:23], s[30:31]
	s_mov_b32 s50, s34
	s_waitcnt vmcnt(0)
	v_add_f64 v[3:4], v[8:9], -v[3:4]
	v_add_f64 v[5:6], v[10:11], -v[1:2]
	global_store_dwordx4 v[16:17], v[3:6], off
.LBB7_146:                              ;   in Loop: Header=BB7_147 Depth=2
	s_or_b64 exec, exec, s[28:29]
	s_and_b64 s[28:29], exec, s[22:23]
	s_or_b64 s[14:15], s[28:29], s[14:15]
	s_andn2_b64 exec, exec, s[14:15]
	s_cbranch_execz .LBB7_162
.LBB7_147:                              ;   Parent Loop BB7_129 Depth=1
                                        ; =>  This Loop Header: Depth=2
                                        ;       Child Loop BB7_150 Depth 3
	v_add_u32_e32 v8, s50, v0
	v_cmp_lt_i32_e32 vcc, -1, v8
	s_or_b64 s[22:23], s[22:23], exec
	s_and_saveexec_b64 s[28:29], vcc
	s_cbranch_execz .LBB7_146
; %bb.148:                              ;   in Loop: Header=BB7_147 Depth=2
	v_lshlrev_b64 v[5:6], 4, v[14:15]
	v_mov_b32_e32 v1, 0
	v_mov_b32_e32 v3, 0
	v_add_u32_e32 v9, s26, v8
	v_add_u32_e32 v10, 0xfffffdff, v7
	;; [unrolled: 1-line block ×3, first 2 shown]
	v_mov_b32_e32 v2, 0
	s_mov_b32 s51, 0
	s_movk_i32 s52, 0x4000
	s_mov_b64 s[30:31], s[12:13]
	s_mov_b64 s[34:35], s[10:11]
	s_mov_b32 s53, s27
	v_mov_b32_e32 v4, 0
	s_mov_b64 s[36:37], s[8:9]
	s_branch .LBB7_150
.LBB7_149:                              ;   in Loop: Header=BB7_150 Depth=3
	s_or_b64 exec, exec, s[38:39]
	s_add_i32 s51, s51, 2
	s_add_i32 s52, s52, 32
	s_add_u32 s36, s36, 0xffffffe0
	s_addc_u32 s37, s37, -1
	s_add_i32 s53, s53, 2
	s_add_u32 s34, s34, 0xffffffe0
	s_addc_u32 s35, s35, -1
	s_add_u32 s30, s30, s47
	s_addc_u32 s31, s31, s48
	s_cmpk_eq_i32 s51, 0x200
	s_cbranch_scc1 .LBB7_145
.LBB7_150:                              ;   Parent Loop BB7_129 Depth=1
                                        ;     Parent Loop BB7_147 Depth=2
                                        ; =>    This Inner Loop Header: Depth=3
	v_cmp_ne_u32_e32 vcc, s51, v7
	s_add_i32 s54, s25, s51
	s_or_b64 s[38:39], s[4:5], vcc
	s_and_saveexec_b64 s[40:41], s[38:39]
	s_xor_b64 s[38:39], exec, s[40:41]
	s_cbranch_execz .LBB7_154
; %bb.151:                              ;   in Loop: Header=BB7_150 Depth=3
	s_add_i32 s40, s54, 0xfffffe00
	v_cmp_le_i32_e32 vcc, s40, v9
	s_and_saveexec_b64 s[40:41], vcc
	s_cbranch_execz .LBB7_153
; %bb.152:                              ;   in Loop: Header=BB7_150 Depth=3
	v_mov_b32_e32 v12, s31
	v_add_co_u32_e32 v11, vcc, s30, v5
	v_addc_co_u32_e32 v12, vcc, v12, v6, vcc
	global_load_dwordx4 v[21:24], v[11:12], off
	v_mov_b32_e32 v11, s52
	ds_read_b128 v[25:28], v11
	s_waitcnt vmcnt(0) lgkmcnt(0)
	v_mul_f64 v[11:12], v[23:24], v[27:28]
	v_mul_f64 v[16:17], v[21:22], v[27:28]
	v_fma_f64 v[11:12], v[21:22], v[25:26], -v[11:12]
	v_fma_f64 v[16:17], v[23:24], v[25:26], v[16:17]
	v_add_f64 v[3:4], v[3:4], v[11:12]
	v_add_f64 v[1:2], v[1:2], v[16:17]
.LBB7_153:                              ;   in Loop: Header=BB7_150 Depth=3
	s_or_b64 exec, exec, s[40:41]
.LBB7_154:                              ;   in Loop: Header=BB7_150 Depth=3
	s_andn2_saveexec_b64 s[38:39], s[38:39]
	s_cbranch_execz .LBB7_156
; %bb.155:                              ;   in Loop: Header=BB7_150 Depth=3
	v_mov_b32_e32 v11, s52
	ds_read_b128 v[21:24], v11
	s_waitcnt lgkmcnt(0)
	v_add_f64 v[3:4], v[3:4], v[21:22]
	v_add_f64 v[1:2], v[1:2], v[23:24]
.LBB7_156:                              ;   in Loop: Header=BB7_150 Depth=3
	s_or_b64 exec, exec, s[38:39]
	v_cmp_ne_u32_e32 vcc, s51, v10
	s_or_b64 s[38:39], s[4:5], vcc
	s_and_saveexec_b64 s[40:41], s[38:39]
	s_xor_b64 s[38:39], exec, s[40:41]
	s_cbranch_execz .LBB7_160
; %bb.157:                              ;   in Loop: Header=BB7_150 Depth=3
	s_addk_i32 s54, 0xfe01
	v_cmp_le_i32_e32 vcc, s54, v9
	s_and_saveexec_b64 s[40:41], vcc
	s_cbranch_execz .LBB7_159
; %bb.158:                              ;   in Loop: Header=BB7_150 Depth=3
	s_mul_i32 s54, s19, s53
	s_mul_hi_u32 s55, s18, s53
	s_add_i32 s55, s55, s54
	s_mul_i32 s54, s18, s53
	s_add_u32 s56, s36, s54
	s_addc_u32 s57, s37, s55
	s_add_u32 s54, s34, s54
	s_addc_u32 s55, s35, s55
	v_mov_b32_e32 v12, s55
	v_add_co_u32_e32 v11, vcc, s54, v5
	v_addc_co_u32_e32 v12, vcc, v12, v6, vcc
	v_mov_b32_e32 v17, s57
	v_add_co_u32_e32 v16, vcc, s56, v5
	v_addc_co_u32_e32 v17, vcc, v17, v6, vcc
	global_load_dwordx2 v[16:17], v[16:17], off
	s_nop 0
	global_load_dwordx2 v[11:12], v[11:12], off
	v_mov_b32_e32 v21, s52
	ds_read_b128 v[21:24], v21 offset:16
	s_waitcnt vmcnt(1) lgkmcnt(0)
	v_mul_f64 v[25:26], v[16:17], v[23:24]
	s_waitcnt vmcnt(0)
	v_mul_f64 v[23:24], v[11:12], v[23:24]
	v_fma_f64 v[11:12], v[11:12], v[21:22], -v[25:26]
	v_fma_f64 v[16:17], v[16:17], v[21:22], v[23:24]
	v_add_f64 v[3:4], v[3:4], v[11:12]
	v_add_f64 v[1:2], v[1:2], v[16:17]
.LBB7_159:                              ;   in Loop: Header=BB7_150 Depth=3
	s_or_b64 exec, exec, s[40:41]
.LBB7_160:                              ;   in Loop: Header=BB7_150 Depth=3
	s_andn2_saveexec_b64 s[38:39], s[38:39]
	s_cbranch_execz .LBB7_149
; %bb.161:                              ;   in Loop: Header=BB7_150 Depth=3
	v_mov_b32_e32 v11, s52
	ds_read_b128 v[21:24], v11 offset:16
	s_waitcnt lgkmcnt(0)
	v_add_f64 v[3:4], v[3:4], v[21:22]
	v_add_f64 v[1:2], v[1:2], v[23:24]
	s_branch .LBB7_149
.LBB7_162:                              ;   in Loop: Header=BB7_129 Depth=1
	s_or_b64 exec, exec, s[14:15]
.LBB7_163:                              ;   in Loop: Header=BB7_129 Depth=1
	s_and_saveexec_b64 s[12:13], s[0:1]
	s_cbranch_execz .LBB7_128
; %bb.164:                              ;   in Loop: Header=BB7_129 Depth=1
	v_mad_u64_u32 v[5:6], s[0:1], s20, v20, 0
	v_mov_b32_e32 v1, v6
	v_mad_u64_u32 v[6:7], s[0:1], s21, v20, v[1:2]
	ds_read2_b64 v[1:4], v18 offset1:1
	v_mov_b32_e32 v7, s33
	v_lshlrev_b64 v[5:6], 4, v[5:6]
	v_add_co_u32_e32 v5, vcc, s24, v5
	v_addc_co_u32_e32 v6, vcc, v7, v6, vcc
	s_waitcnt lgkmcnt(0)
	global_store_dwordx4 v[5:6], v[1:4], off
	s_branch .LBB7_128
.LBB7_165:
	s_endpgm
	.section	.rodata,"a",@progbits
	.p2align	6, 0x0
	.amdhsa_kernel _ZL19rocblas_tbsv_kernelILb0ELi512EPK19rocblas_complex_numIdEPS1_Ev18rocblas_operation_bbiiT1_lllT2_lll
		.amdhsa_group_segment_fixed_size 32768
		.amdhsa_private_segment_fixed_size 0
		.amdhsa_kernarg_size 80
		.amdhsa_user_sgpr_count 6
		.amdhsa_user_sgpr_private_segment_buffer 1
		.amdhsa_user_sgpr_dispatch_ptr 0
		.amdhsa_user_sgpr_queue_ptr 0
		.amdhsa_user_sgpr_kernarg_segment_ptr 1
		.amdhsa_user_sgpr_dispatch_id 0
		.amdhsa_user_sgpr_flat_scratch_init 0
		.amdhsa_user_sgpr_private_segment_size 0
		.amdhsa_uses_dynamic_stack 0
		.amdhsa_system_sgpr_private_segment_wavefront_offset 0
		.amdhsa_system_sgpr_workgroup_id_x 1
		.amdhsa_system_sgpr_workgroup_id_y 0
		.amdhsa_system_sgpr_workgroup_id_z 0
		.amdhsa_system_sgpr_workgroup_info 0
		.amdhsa_system_vgpr_workitem_id 0
		.amdhsa_next_free_vgpr 49
		.amdhsa_next_free_sgpr 98
		.amdhsa_reserve_vcc 1
		.amdhsa_reserve_flat_scratch 0
		.amdhsa_float_round_mode_32 0
		.amdhsa_float_round_mode_16_64 0
		.amdhsa_float_denorm_mode_32 3
		.amdhsa_float_denorm_mode_16_64 3
		.amdhsa_dx10_clamp 1
		.amdhsa_ieee_mode 1
		.amdhsa_fp16_overflow 0
		.amdhsa_exception_fp_ieee_invalid_op 0
		.amdhsa_exception_fp_denorm_src 0
		.amdhsa_exception_fp_ieee_div_zero 0
		.amdhsa_exception_fp_ieee_overflow 0
		.amdhsa_exception_fp_ieee_underflow 0
		.amdhsa_exception_fp_ieee_inexact 0
		.amdhsa_exception_int_div_zero 0
	.end_amdhsa_kernel
	.section	.text._ZL19rocblas_tbsv_kernelILb0ELi512EPK19rocblas_complex_numIdEPS1_Ev18rocblas_operation_bbiiT1_lllT2_lll,"axG",@progbits,_ZL19rocblas_tbsv_kernelILb0ELi512EPK19rocblas_complex_numIdEPS1_Ev18rocblas_operation_bbiiT1_lllT2_lll,comdat
.Lfunc_end7:
	.size	_ZL19rocblas_tbsv_kernelILb0ELi512EPK19rocblas_complex_numIdEPS1_Ev18rocblas_operation_bbiiT1_lllT2_lll, .Lfunc_end7-_ZL19rocblas_tbsv_kernelILb0ELi512EPK19rocblas_complex_numIdEPS1_Ev18rocblas_operation_bbiiT1_lllT2_lll
                                        ; -- End function
	.set _ZL19rocblas_tbsv_kernelILb0ELi512EPK19rocblas_complex_numIdEPS1_Ev18rocblas_operation_bbiiT1_lllT2_lll.num_vgpr, 33
	.set _ZL19rocblas_tbsv_kernelILb0ELi512EPK19rocblas_complex_numIdEPS1_Ev18rocblas_operation_bbiiT1_lllT2_lll.num_agpr, 0
	.set _ZL19rocblas_tbsv_kernelILb0ELi512EPK19rocblas_complex_numIdEPS1_Ev18rocblas_operation_bbiiT1_lllT2_lll.numbered_sgpr, 70
	.set _ZL19rocblas_tbsv_kernelILb0ELi512EPK19rocblas_complex_numIdEPS1_Ev18rocblas_operation_bbiiT1_lllT2_lll.num_named_barrier, 0
	.set _ZL19rocblas_tbsv_kernelILb0ELi512EPK19rocblas_complex_numIdEPS1_Ev18rocblas_operation_bbiiT1_lllT2_lll.private_seg_size, 0
	.set _ZL19rocblas_tbsv_kernelILb0ELi512EPK19rocblas_complex_numIdEPS1_Ev18rocblas_operation_bbiiT1_lllT2_lll.uses_vcc, 1
	.set _ZL19rocblas_tbsv_kernelILb0ELi512EPK19rocblas_complex_numIdEPS1_Ev18rocblas_operation_bbiiT1_lllT2_lll.uses_flat_scratch, 0
	.set _ZL19rocblas_tbsv_kernelILb0ELi512EPK19rocblas_complex_numIdEPS1_Ev18rocblas_operation_bbiiT1_lllT2_lll.has_dyn_sized_stack, 0
	.set _ZL19rocblas_tbsv_kernelILb0ELi512EPK19rocblas_complex_numIdEPS1_Ev18rocblas_operation_bbiiT1_lllT2_lll.has_recursion, 0
	.set _ZL19rocblas_tbsv_kernelILb0ELi512EPK19rocblas_complex_numIdEPS1_Ev18rocblas_operation_bbiiT1_lllT2_lll.has_indirect_call, 0
	.section	.AMDGPU.csdata,"",@progbits
; Kernel info:
; codeLenInByte = 7748
; TotalNumSgprs: 74
; NumVgprs: 33
; ScratchSize: 0
; MemoryBound: 0
; FloatMode: 240
; IeeeMode: 1
; LDSByteSize: 32768 bytes/workgroup (compile time only)
; SGPRBlocks: 12
; VGPRBlocks: 12
; NumSGPRsForWavesPerEU: 102
; NumVGPRsForWavesPerEU: 49
; Occupancy: 4
; WaveLimiterHint : 0
; COMPUTE_PGM_RSRC2:SCRATCH_EN: 0
; COMPUTE_PGM_RSRC2:USER_SGPR: 6
; COMPUTE_PGM_RSRC2:TRAP_HANDLER: 0
; COMPUTE_PGM_RSRC2:TGID_X_EN: 1
; COMPUTE_PGM_RSRC2:TGID_Y_EN: 0
; COMPUTE_PGM_RSRC2:TGID_Z_EN: 0
; COMPUTE_PGM_RSRC2:TIDIG_COMP_CNT: 0
	.section	.text._ZL19rocblas_tbsv_kernelILb1ELi512EPKPKfPKPfEv18rocblas_operation_bbiiT1_lllT2_lll,"axG",@progbits,_ZL19rocblas_tbsv_kernelILb1ELi512EPKPKfPKPfEv18rocblas_operation_bbiiT1_lllT2_lll,comdat
	.globl	_ZL19rocblas_tbsv_kernelILb1ELi512EPKPKfPKPfEv18rocblas_operation_bbiiT1_lllT2_lll ; -- Begin function _ZL19rocblas_tbsv_kernelILb1ELi512EPKPKfPKPfEv18rocblas_operation_bbiiT1_lllT2_lll
	.p2align	8
	.type	_ZL19rocblas_tbsv_kernelILb1ELi512EPKPKfPKPfEv18rocblas_operation_bbiiT1_lllT2_lll,@function
_ZL19rocblas_tbsv_kernelILb1ELi512EPKPKfPKPfEv18rocblas_operation_bbiiT1_lllT2_lll: ; @_ZL19rocblas_tbsv_kernelILb1ELi512EPKPKfPKPfEv18rocblas_operation_bbiiT1_lllT2_lll
; %bb.0:
	s_load_dwordx2 s[26:27], s[4:5], 0x0
	s_load_dwordx4 s[8:11], s[4:5], 0x4
	s_load_dwordx4 s[12:15], s[4:5], 0x10
	s_load_dwordx2 s[16:17], s[4:5], 0x20
	s_mov_b32 s7, 0
	s_waitcnt lgkmcnt(0)
	s_bitcmp1_b32 s27, 0
	s_cselect_b64 s[0:1], -1, 0
	s_xor_b64 s[24:25], s[0:1], -1
	s_bitcmp1_b32 s8, 8
	s_cselect_b64 s[18:19], -1, 0
	s_lshl_b64 s[22:23], s[6:7], 3
	s_add_u32 s20, s12, s22
	s_addc_u32 s21, s13, s23
	s_load_dwordx2 s[12:13], s[20:21], 0x0
	s_load_dwordx4 s[0:3], s[4:5], 0x30
	s_load_dwordx2 s[6:7], s[4:5], 0x40
	s_lshl_b64 s[20:21], s[14:15], 2
	s_waitcnt lgkmcnt(0)
	s_add_u32 s4, s12, s20
	s_addc_u32 s5, s13, s21
	s_add_u32 s0, s0, s22
	s_addc_u32 s1, s1, s23
	s_load_dwordx2 s[0:1], s[0:1], 0x0
	s_lshl_b64 s[2:3], s[2:3], 2
	s_waitcnt lgkmcnt(0)
	s_add_u32 s8, s0, s2
	s_addc_u32 s33, s1, s3
	s_cmp_gt_i32 s9, 0
	s_cselect_b64 s[22:23], -1, 0
	s_cmpk_lg_i32 s26, 0x6f
	s_mov_b64 s[0:1], -1
	s_cbranch_scc0 .LBB8_109
; %bb.1:
	s_and_b64 vcc, exec, s[24:25]
	s_cbranch_vccz .LBB8_55
; %bb.2:
	s_andn2_b64 vcc, exec, s[22:23]
	s_cbranch_vccnz .LBB8_54
; %bb.3:
	s_ashr_i32 s1, s9, 31
	s_mov_b32 s0, s9
	s_add_i32 s36, s9, 0xfffffe00
	s_lshl_b64 s[0:1], s[0:1], 2
	s_add_u32 s0, s20, s0
	s_addc_u32 s1, s21, s1
	s_add_u32 s0, s12, s0
	v_mov_b32_e32 v1, 0x1800
	s_addc_u32 s1, s13, s1
	v_lshl_or_b32 v7, v0, 2, v1
	s_add_u32 s26, s0, 0xfffff800
	v_add_u32_e32 v1, s9, v0
	v_sub_u32_e32 v8, 0, v0
	v_add_u32_e32 v9, 0xfffffe01, v0
	s_addc_u32 s27, s1, -1
	v_add_u32_e32 v10, 0xfffffc00, v1
	s_lshl_b64 s[28:29], s[16:17], 2
	v_mov_b32_e32 v11, s5
	s_xor_b64 s[30:31], s[18:19], -1
	v_mov_b32_e32 v2, 0
	s_mov_b32 s11, s9
	s_branch .LBB8_5
.LBB8_4:                                ;   in Loop: Header=BB8_5 Depth=1
	s_or_b64 exec, exec, s[34:35]
	s_addk_i32 s11, 0xfe00
	s_add_u32 s26, s26, 0xfffff800
	s_addc_u32 s27, s27, -1
	v_add_u32_e32 v10, 0xfffffe00, v10
	s_andn2_b64 vcc, exec, s[2:3]
	s_mov_b32 s36, s44
	s_waitcnt vmcnt(0) lgkmcnt(0)
	s_barrier
	s_cbranch_vccz .LBB8_54
.LBB8_5:                                ; =>This Loop Header: Depth=1
                                        ;     Child Loop BB8_10 Depth 2
                                        ;     Child Loop BB8_24 Depth 2
                                        ;       Child Loop BB8_27 Depth 3
	v_add_u32_e32 v12, s36, v0
	v_cmp_gt_i32_e32 vcc, 0, v12
	v_cmp_lt_i32_e64 s[0:1], -1, v12
	s_and_saveexec_b64 s[34:35], s[0:1]
	s_cbranch_execz .LBB8_7
; %bb.6:                                ;   in Loop: Header=BB8_5 Depth=1
	v_mad_u64_u32 v[3:4], s[2:3], s6, v12, 0
	v_mov_b32_e32 v1, v4
	v_mad_u64_u32 v[4:5], s[2:3], s7, v12, v[1:2]
	v_mov_b32_e32 v1, s33
	v_lshlrev_b64 v[3:4], 2, v[3:4]
	v_add_co_u32_e64 v3, s[2:3], s8, v3
	v_addc_co_u32_e64 v4, s[2:3], v1, v4, s[2:3]
	flat_load_dword v1, v[3:4]
	s_waitcnt vmcnt(0) lgkmcnt(0)
	ds_write_b32 v7, v1
.LBB8_7:                                ;   in Loop: Header=BB8_5 Depth=1
	s_or_b64 exec, exec, s[34:35]
	v_ashrrev_i32_e32 v1, 31, v12
	v_mul_lo_u32 v6, s17, v12
	v_mul_lo_u32 v1, s16, v1
	v_mad_u64_u32 v[4:5], s[2:3], s16, v12, 0
	v_add_u32_e32 v3, s10, v12
	s_movk_i32 s37, 0x1ff
	v_add3_u32 v5, v5, v1, v6
	v_lshlrev_b64 v[4:5], 2, v[4:5]
	s_mov_b32 s38, 0
	v_add_co_u32_e64 v4, s[2:3], s4, v4
	v_addc_co_u32_e64 v5, s[2:3], v11, v5, s[2:3]
	s_movk_i32 s39, 0x1ff8
	s_xor_b64 s[34:35], vcc, -1
	s_waitcnt lgkmcnt(0)
	s_barrier
	s_branch .LBB8_10
.LBB8_8:                                ;   in Loop: Header=BB8_10 Depth=2
	s_or_b64 exec, exec, s[2:3]
	s_add_i32 s37, s37, -2
	s_add_i32 s38, s38, -2
	;; [unrolled: 1-line block ×3, first 2 shown]
	s_cmp_eq_u32 s40, 0
	s_cselect_b64 s[2:3], -1, 0
.LBB8_9:                                ;   in Loop: Header=BB8_10 Depth=2
	s_and_b64 vcc, exec, s[2:3]
	s_cbranch_vccnz .LBB8_20
.LBB8_10:                               ;   Parent Loop BB8_5 Depth=1
                                        ; =>  This Inner Loop Header: Depth=2
	s_add_i32 s40, s11, s38
	s_add_i32 s41, s40, -1
	s_cmp_lt_i32 s41, 0
	s_mov_b64 s[2:3], -1
	s_cbranch_scc1 .LBB8_9
; %bb.11:                               ;   in Loop: Header=BB8_10 Depth=2
	v_cmp_eq_u32_e32 vcc, s38, v9
	s_and_b64 s[42:43], s[30:31], vcc
	s_and_saveexec_b64 s[2:3], s[42:43]
	s_cbranch_execz .LBB8_13
; %bb.12:                               ;   in Loop: Header=BB8_10 Depth=2
	s_mul_i32 s42, s17, s41
	s_mul_hi_u32 s43, s16, s41
	s_add_i32 s43, s43, s42
	s_mul_i32 s42, s16, s41
	s_lshl_b64 s[42:43], s[42:43], 2
	s_add_u32 s42, s4, s42
	s_addc_u32 s43, s5, s43
	v_mov_b32_e32 v13, s42
	v_mov_b32_e32 v14, s43
	flat_load_dword v1, v[13:14]
	ds_read_b32 v6, v7
	s_waitcnt vmcnt(0) lgkmcnt(0)
	v_div_scale_f32 v13, s[42:43], v1, v1, v6
	v_div_scale_f32 v14, vcc, v6, v1, v6
	v_rcp_f32_e32 v15, v13
	v_fma_f32 v16, -v13, v15, 1.0
	v_fmac_f32_e32 v15, v16, v15
	v_mul_f32_e32 v16, v14, v15
	v_fma_f32 v17, -v13, v16, v14
	v_fmac_f32_e32 v16, v17, v15
	v_fma_f32 v13, -v13, v16, v14
	v_div_fmas_f32 v13, v13, v15, v16
	v_div_fixup_f32 v1, v13, v1, v6
	ds_write_b32 v7, v1
.LBB8_13:                               ;   in Loop: Header=BB8_10 Depth=2
	s_or_b64 exec, exec, s[2:3]
	v_cmp_gt_u32_e32 vcc, s37, v0
	v_cmp_le_i32_e64 s[2:3], s41, v3
	s_and_b64 s[42:43], s[34:35], vcc
	s_and_b64 s[42:43], s[42:43], s[2:3]
	s_waitcnt lgkmcnt(0)
	s_barrier
	s_and_saveexec_b64 s[2:3], s[42:43]
	s_cbranch_execz .LBB8_15
; %bb.14:                               ;   in Loop: Header=BB8_10 Depth=2
	v_add_u32_e32 v1, s38, v8
	v_add_u32_e32 v1, 0x1ff, v1
	v_lshlrev_b64 v[13:14], 2, v[1:2]
	v_mov_b32_e32 v6, s39
	v_add_co_u32_e32 v13, vcc, v4, v13
	v_addc_co_u32_e32 v14, vcc, v5, v14, vcc
	flat_load_dword v1, v[13:14]
	ds_read_b32 v6, v6 offset:4
	ds_read_b32 v13, v7
	s_waitcnt vmcnt(0) lgkmcnt(0)
	v_fma_f32 v1, -v1, v6, v13
	ds_write_b32 v7, v1
.LBB8_15:                               ;   in Loop: Header=BB8_10 Depth=2
	s_or_b64 exec, exec, s[2:3]
	s_add_i32 s41, s40, -2
	s_cmp_lt_i32 s41, 0
	s_mov_b64 s[2:3], -1
	s_cbranch_scc1 .LBB8_9
; %bb.16:                               ;   in Loop: Header=BB8_10 Depth=2
	s_add_i32 s40, s37, -1
	v_cmp_eq_u32_e32 vcc, s40, v0
	s_and_b64 s[42:43], s[30:31], vcc
	s_and_saveexec_b64 s[2:3], s[42:43]
	s_cbranch_execz .LBB8_18
; %bb.17:                               ;   in Loop: Header=BB8_10 Depth=2
	s_mul_i32 s42, s17, s41
	s_mul_hi_u32 s43, s16, s41
	s_add_i32 s43, s43, s42
	s_mul_i32 s42, s16, s41
	s_lshl_b64 s[42:43], s[42:43], 2
	s_add_u32 s42, s4, s42
	s_addc_u32 s43, s5, s43
	v_mov_b32_e32 v13, s42
	v_mov_b32_e32 v14, s43
	flat_load_dword v1, v[13:14]
	ds_read_b32 v6, v7
	s_waitcnt vmcnt(0) lgkmcnt(0)
	v_div_scale_f32 v13, s[42:43], v1, v1, v6
	v_div_scale_f32 v14, vcc, v6, v1, v6
	v_rcp_f32_e32 v15, v13
	v_fma_f32 v16, -v13, v15, 1.0
	v_fmac_f32_e32 v15, v16, v15
	v_mul_f32_e32 v16, v14, v15
	v_fma_f32 v17, -v13, v16, v14
	v_fmac_f32_e32 v16, v17, v15
	v_fma_f32 v13, -v13, v16, v14
	v_div_fmas_f32 v13, v13, v15, v16
	v_div_fixup_f32 v1, v13, v1, v6
	ds_write_b32 v7, v1
.LBB8_18:                               ;   in Loop: Header=BB8_10 Depth=2
	s_or_b64 exec, exec, s[2:3]
	v_cmp_gt_u32_e32 vcc, s40, v0
	v_cmp_le_i32_e64 s[2:3], s41, v3
	s_and_b64 s[42:43], s[34:35], vcc
	s_and_b64 s[42:43], s[42:43], s[2:3]
	s_waitcnt lgkmcnt(0)
	s_barrier
	s_and_saveexec_b64 s[2:3], s[42:43]
	s_cbranch_execz .LBB8_8
; %bb.19:                               ;   in Loop: Header=BB8_10 Depth=2
	v_add_u32_e32 v1, s38, v8
	v_add_u32_e32 v1, 0x1fe, v1
	v_lshlrev_b64 v[13:14], 2, v[1:2]
	v_mov_b32_e32 v6, s39
	v_add_co_u32_e32 v13, vcc, v4, v13
	v_addc_co_u32_e32 v14, vcc, v5, v14, vcc
	flat_load_dword v1, v[13:14]
	ds_read_b32 v6, v6
	ds_read_b32 v13, v7
	s_waitcnt vmcnt(0) lgkmcnt(0)
	v_fma_f32 v1, -v1, v6, v13
	ds_write_b32 v7, v1
	s_branch .LBB8_8
.LBB8_20:                               ;   in Loop: Header=BB8_5 Depth=1
	s_add_i32 s44, s36, 0xfffffe00
	s_cmp_lt_i32 s36, 1
	s_cselect_b64 s[2:3], -1, 0
	s_and_b64 vcc, exec, s[2:3]
	s_waitcnt lgkmcnt(0)
	s_barrier
	s_cbranch_vccnz .LBB8_52
; %bb.21:                               ;   in Loop: Header=BB8_5 Depth=1
	v_mad_i64_i32 v[3:4], s[34:35], v10, -4, s[26:27]
	s_mov_b64 s[34:35], 0
	v_mov_b32_e32 v1, v10
	v_mov_b32_e32 v13, v0
	s_mov_b32 s45, s44
                                        ; implicit-def: $sgpr36_sgpr37
	s_branch .LBB8_24
.LBB8_22:                               ;   in Loop: Header=BB8_24 Depth=2
	v_mad_u64_u32 v[5:6], s[40:41], s6, v15, 0
	s_add_i32 s42, s45, 0xfffffe00
	s_cmp_lt_i32 s45, 1
	v_mad_u64_u32 v[15:16], s[40:41], s7, v15, v[6:7]
	v_mov_b32_e32 v16, s33
	s_cselect_b64 s[40:41], -1, 0
	v_mov_b32_e32 v6, v15
	v_lshlrev_b64 v[5:6], 2, v[5:6]
	s_andn2_b64 s[36:37], s[36:37], exec
	v_add_co_u32_e32 v5, vcc, s8, v5
	v_addc_co_u32_e32 v6, vcc, v16, v6, vcc
	flat_load_dword v15, v[5:6]
	v_add_co_u32_e32 v3, vcc, 0x800, v3
	s_and_b64 s[40:41], s[40:41], exec
	v_add_u32_e32 v1, 0xfffffe00, v1
	v_addc_co_u32_e32 v4, vcc, 0, v4, vcc
	s_or_b64 s[36:37], s[36:37], s[40:41]
	s_mov_b32 s45, s42
	s_waitcnt vmcnt(0) lgkmcnt(0)
	v_sub_f32_e32 v14, v15, v14
	flat_store_dword v[5:6], v14
.LBB8_23:                               ;   in Loop: Header=BB8_24 Depth=2
	s_or_b64 exec, exec, s[38:39]
	s_and_b64 s[38:39], exec, s[36:37]
	s_or_b64 s[34:35], s[38:39], s[34:35]
	s_andn2_b64 exec, exec, s[34:35]
	s_cbranch_execz .LBB8_51
.LBB8_24:                               ;   Parent Loop BB8_5 Depth=1
                                        ; =>  This Loop Header: Depth=2
                                        ;       Child Loop BB8_27 Depth 3
	v_add_u32_e32 v15, s45, v0
	v_cmp_lt_i32_e32 vcc, -1, v15
	s_or_b64 s[36:37], s[36:37], exec
	s_and_saveexec_b64 s[38:39], vcc
	s_cbranch_execz .LBB8_23
; %bb.25:                               ;   in Loop: Header=BB8_24 Depth=2
	v_mad_u64_u32 v[5:6], s[40:41], s28, v1, v[3:4]
	v_add_u32_e32 v16, s10, v15
	v_add_u32_e32 v17, 0xfffffdfd, v13
	v_mad_u64_u32 v[20:21], s[40:41], s29, v1, v[6:7]
	v_add_u32_e32 v18, 0xfffffdfe, v13
	v_add_u32_e32 v19, 0xfffffdff, v13
	v_mov_b32_e32 v6, v20
	v_add_u32_e32 v13, 0xfffffe00, v13
	v_mov_b32_e32 v14, 0
	s_mov_b32 s46, 0
	s_movk_i32 s47, 0x1800
	s_branch .LBB8_27
.LBB8_26:                               ;   in Loop: Header=BB8_27 Depth=3
	s_or_b64 exec, exec, s[40:41]
	s_add_i32 s46, s46, 4
	s_add_i32 s47, s47, 16
	v_add_co_u32_e32 v5, vcc, 16, v5
	s_cmpk_eq_i32 s46, 0x200
	v_addc_co_u32_e32 v6, vcc, 0, v6, vcc
	s_cbranch_scc1 .LBB8_22
.LBB8_27:                               ;   Parent Loop BB8_5 Depth=1
                                        ;     Parent Loop BB8_24 Depth=2
                                        ; =>    This Inner Loop Header: Depth=3
	v_cmp_ne_u32_e32 vcc, s46, v13
	s_add_i32 s48, s11, s46
	s_or_b64 s[40:41], s[30:31], vcc
	s_and_saveexec_b64 s[42:43], s[40:41]
	s_xor_b64 s[40:41], exec, s[42:43]
	s_cbranch_execz .LBB8_31
; %bb.28:                               ;   in Loop: Header=BB8_27 Depth=3
	s_add_i32 s42, s48, 0xfffffe00
	v_cmp_le_i32_e32 vcc, s42, v16
	s_and_saveexec_b64 s[42:43], vcc
	s_cbranch_execz .LBB8_30
; %bb.29:                               ;   in Loop: Header=BB8_27 Depth=3
	flat_load_dword v20, v[5:6]
	v_mov_b32_e32 v21, s47
	ds_read_b32 v21, v21
	s_waitcnt vmcnt(0) lgkmcnt(0)
	v_fmac_f32_e32 v14, v20, v21
.LBB8_30:                               ;   in Loop: Header=BB8_27 Depth=3
	s_or_b64 exec, exec, s[42:43]
.LBB8_31:                               ;   in Loop: Header=BB8_27 Depth=3
	s_andn2_saveexec_b64 s[40:41], s[40:41]
	s_cbranch_execz .LBB8_33
; %bb.32:                               ;   in Loop: Header=BB8_27 Depth=3
	v_mov_b32_e32 v20, s47
	ds_read_b32 v20, v20
	s_waitcnt lgkmcnt(0)
	v_add_f32_e32 v14, v14, v20
.LBB8_33:                               ;   in Loop: Header=BB8_27 Depth=3
	s_or_b64 exec, exec, s[40:41]
	v_cmp_ne_u32_e32 vcc, s46, v19
	s_or_b64 s[40:41], s[30:31], vcc
	s_and_saveexec_b64 s[42:43], s[40:41]
	s_xor_b64 s[40:41], exec, s[42:43]
	s_cbranch_execz .LBB8_37
; %bb.34:                               ;   in Loop: Header=BB8_27 Depth=3
	s_add_i32 s42, s48, 0xfffffe01
	v_cmp_le_i32_e32 vcc, s42, v16
	s_and_saveexec_b64 s[42:43], vcc
	s_cbranch_execz .LBB8_36
; %bb.35:                               ;   in Loop: Header=BB8_27 Depth=3
	flat_load_dword v20, v[5:6] offset:4
	v_mov_b32_e32 v21, s47
	ds_read_b32 v21, v21 offset:4
	s_waitcnt vmcnt(0) lgkmcnt(0)
	v_fmac_f32_e32 v14, v20, v21
.LBB8_36:                               ;   in Loop: Header=BB8_27 Depth=3
	s_or_b64 exec, exec, s[42:43]
.LBB8_37:                               ;   in Loop: Header=BB8_27 Depth=3
	s_andn2_saveexec_b64 s[40:41], s[40:41]
	s_cbranch_execz .LBB8_39
; %bb.38:                               ;   in Loop: Header=BB8_27 Depth=3
	v_mov_b32_e32 v20, s47
	ds_read_b32 v20, v20 offset:4
	s_waitcnt lgkmcnt(0)
	v_add_f32_e32 v14, v14, v20
.LBB8_39:                               ;   in Loop: Header=BB8_27 Depth=3
	s_or_b64 exec, exec, s[40:41]
	v_cmp_ne_u32_e32 vcc, s46, v18
	s_or_b64 s[40:41], s[30:31], vcc
	s_and_saveexec_b64 s[42:43], s[40:41]
	s_xor_b64 s[40:41], exec, s[42:43]
	s_cbranch_execz .LBB8_43
; %bb.40:                               ;   in Loop: Header=BB8_27 Depth=3
	s_add_i32 s42, s48, 0xfffffe02
	v_cmp_le_i32_e32 vcc, s42, v16
	s_and_saveexec_b64 s[42:43], vcc
	s_cbranch_execz .LBB8_42
; %bb.41:                               ;   in Loop: Header=BB8_27 Depth=3
	flat_load_dword v20, v[5:6] offset:8
	v_mov_b32_e32 v21, s47
	ds_read_b32 v21, v21 offset:8
	s_waitcnt vmcnt(0) lgkmcnt(0)
	v_fmac_f32_e32 v14, v20, v21
.LBB8_42:                               ;   in Loop: Header=BB8_27 Depth=3
	s_or_b64 exec, exec, s[42:43]
.LBB8_43:                               ;   in Loop: Header=BB8_27 Depth=3
	s_andn2_saveexec_b64 s[40:41], s[40:41]
	s_cbranch_execz .LBB8_45
; %bb.44:                               ;   in Loop: Header=BB8_27 Depth=3
	v_mov_b32_e32 v20, s47
	ds_read_b32 v20, v20 offset:8
	s_waitcnt lgkmcnt(0)
	v_add_f32_e32 v14, v14, v20
.LBB8_45:                               ;   in Loop: Header=BB8_27 Depth=3
	s_or_b64 exec, exec, s[40:41]
	v_cmp_ne_u32_e32 vcc, s46, v17
	s_or_b64 s[40:41], s[30:31], vcc
	s_and_saveexec_b64 s[42:43], s[40:41]
	s_xor_b64 s[40:41], exec, s[42:43]
	s_cbranch_execz .LBB8_49
; %bb.46:                               ;   in Loop: Header=BB8_27 Depth=3
	s_addk_i32 s48, 0xfe03
	v_cmp_le_i32_e32 vcc, s48, v16
	s_and_saveexec_b64 s[42:43], vcc
	s_cbranch_execz .LBB8_48
; %bb.47:                               ;   in Loop: Header=BB8_27 Depth=3
	flat_load_dword v20, v[5:6] offset:12
	v_mov_b32_e32 v21, s47
	ds_read_b32 v21, v21 offset:12
	s_waitcnt vmcnt(0) lgkmcnt(0)
	v_fmac_f32_e32 v14, v20, v21
.LBB8_48:                               ;   in Loop: Header=BB8_27 Depth=3
	s_or_b64 exec, exec, s[42:43]
.LBB8_49:                               ;   in Loop: Header=BB8_27 Depth=3
	s_andn2_saveexec_b64 s[40:41], s[40:41]
	s_cbranch_execz .LBB8_26
; %bb.50:                               ;   in Loop: Header=BB8_27 Depth=3
	v_mov_b32_e32 v20, s47
	ds_read_b32 v20, v20 offset:12
	s_waitcnt lgkmcnt(0)
	v_add_f32_e32 v14, v14, v20
	s_branch .LBB8_26
.LBB8_51:                               ;   in Loop: Header=BB8_5 Depth=1
	s_or_b64 exec, exec, s[34:35]
.LBB8_52:                               ;   in Loop: Header=BB8_5 Depth=1
	s_and_saveexec_b64 s[34:35], s[0:1]
	s_cbranch_execz .LBB8_4
; %bb.53:                               ;   in Loop: Header=BB8_5 Depth=1
	v_mad_u64_u32 v[3:4], s[0:1], s6, v12, 0
	v_mov_b32_e32 v1, v4
	v_mad_u64_u32 v[4:5], s[0:1], s7, v12, v[1:2]
	ds_read_b32 v1, v7
	v_mov_b32_e32 v5, s33
	v_lshlrev_b64 v[3:4], 2, v[3:4]
	v_add_co_u32_e32 v3, vcc, s8, v3
	v_addc_co_u32_e32 v4, vcc, v5, v4, vcc
	s_waitcnt lgkmcnt(0)
	flat_store_dword v[3:4], v1
	s_branch .LBB8_4
.LBB8_54:
	s_mov_b64 s[0:1], 0
.LBB8_55:
	s_andn2_b64 vcc, exec, s[0:1]
	s_cbranch_vccnz .LBB8_108
; %bb.56:
	s_andn2_b64 vcc, exec, s[22:23]
	s_cbranch_vccnz .LBB8_108
; %bb.57:
	s_ashr_i32 s11, s10, 31
	s_lshl_b64 s[0:1], s[16:17], 2
	s_lshl_b64 s[2:3], s[10:11], 2
	s_add_u32 s11, s0, s2
	s_addc_u32 s27, s1, s3
	s_add_u32 s26, s12, s11
	s_addc_u32 s27, s13, s27
	s_lshl_b64 s[28:29], s[16:17], 11
	s_lshl_b64 s[30:31], s[16:17], 3
	s_add_u32 s11, s28, 0x800
	s_addc_u32 s38, s29, 0
	s_add_u32 s0, s0, -4
	s_addc_u32 s36, s1, -1
	s_add_u32 s34, s12, s2
	s_addc_u32 s35, s13, s3
	v_mov_b32_e32 v1, s34
	v_mov_b32_e32 v2, s35
	v_or_b32_e32 v9, 0x200, v0
	v_mad_u64_u32 v[1:2], s[0:1], s0, v0, v[1:2]
	v_mad_u64_u32 v[3:4], s[0:1], s16, v9, 0
	s_mov_b32 s50, 0
	v_mov_b32_e32 v11, s29
	v_mad_u64_u32 v[5:6], s[0:1], s36, v0, v[2:3]
	v_mov_b32_e32 v2, v4
	v_mad_u64_u32 v[6:7], s[0:1], s17, v9, v[2:3]
	s_add_u32 s0, s34, s20
	v_mov_b32_e32 v2, 0x800
	v_mov_b32_e32 v4, v6
	v_lshlrev_b64 v[3:4], 2, v[3:4]
	s_addc_u32 s1, s35, s21
	v_lshl_or_b32 v10, v0, 2, v2
	v_mov_b32_e32 v2, v5
	v_mov_b32_e32 v5, s1
	v_add_co_u32_e32 v3, vcc, s0, v3
	s_add_u32 s48, s28, 0xfffff800
	v_addc_co_u32_e32 v4, vcc, v5, v4, vcc
	s_addc_u32 s49, s29, -1
	s_xor_b64 s[36:37], s[18:19], -1
	v_mov_b32_e32 v12, s38
	s_branch .LBB8_59
.LBB8_58:                               ;   in Loop: Header=BB8_59 Depth=1
	s_or_b64 exec, exec, s[38:39]
	v_add_co_u32_e32 v1, vcc, s28, v1
	s_add_u32 s26, s26, s28
	v_addc_co_u32_e32 v2, vcc, v2, v11, vcc
	s_addc_u32 s27, s27, s29
	v_add_co_u32_e32 v3, vcc, s11, v3
	s_add_u32 s34, s34, s28
	v_addc_co_u32_e32 v4, vcc, v4, v12, vcc
	s_addc_u32 s35, s35, s29
	v_add_u32_e32 v9, 0x200, v9
	s_and_b64 vcc, exec, s[2:3]
	s_mov_b32 s50, s51
	s_waitcnt vmcnt(0) lgkmcnt(0)
	s_barrier
	s_cbranch_vccnz .LBB8_108
.LBB8_59:                               ; =>This Loop Header: Depth=1
                                        ;     Child Loop BB8_63 Depth 2
                                        ;     Child Loop BB8_78 Depth 2
                                        ;       Child Loop BB8_81 Depth 3
	v_add_u32_e32 v13, s50, v0
	v_cmp_le_i32_e32 vcc, s9, v13
	v_cmp_gt_i32_e64 s[0:1], s9, v13
	s_and_saveexec_b64 s[38:39], s[0:1]
	s_cbranch_execz .LBB8_61
; %bb.60:                               ;   in Loop: Header=BB8_59 Depth=1
	v_mad_u64_u32 v[5:6], s[2:3], s6, v13, 0
	v_mad_u64_u32 v[6:7], s[2:3], s7, v13, v[6:7]
	v_mov_b32_e32 v7, s33
	v_lshlrev_b64 v[5:6], 2, v[5:6]
	v_add_co_u32_e64 v5, s[2:3], s8, v5
	v_addc_co_u32_e64 v6, s[2:3], v7, v6, s[2:3]
	flat_load_dword v5, v[5:6]
	s_waitcnt vmcnt(0) lgkmcnt(0)
	ds_write_b32 v10, v5
.LBB8_61:                               ;   in Loop: Header=BB8_59 Depth=1
	s_or_b64 exec, exec, s[38:39]
	v_mov_b32_e32 v6, v2
	v_subrev_u32_e32 v7, s10, v13
	s_mov_b32 s45, 0
	s_movk_i32 s44, 0x800
	s_xor_b64 s[38:39], vcc, -1
	s_mov_b64 s[42:43], s[34:35]
	v_mov_b32_e32 v5, v1
	s_mov_b64 s[40:41], s[26:27]
	s_waitcnt lgkmcnt(0)
	s_barrier
	s_branch .LBB8_63
.LBB8_62:                               ;   in Loop: Header=BB8_63 Depth=2
                                        ; implicit-def: $sgpr45
                                        ; implicit-def: $sgpr44
                                        ; implicit-def: $sgpr40_sgpr41
                                        ; implicit-def: $vgpr5_vgpr6
                                        ; implicit-def: $sgpr42_sgpr43
	s_cbranch_execnz .LBB8_74
.LBB8_63:                               ;   Parent Loop BB8_59 Depth=1
                                        ; =>  This Inner Loop Header: Depth=2
	s_add_i32 s46, s50, s45
	s_cmp_ge_i32 s46, s9
	s_cbranch_scc1 .LBB8_62
; %bb.64:                               ;   in Loop: Header=BB8_63 Depth=2
	v_cmp_eq_u32_e32 vcc, s45, v0
	s_and_b64 s[52:53], s[36:37], vcc
	s_and_saveexec_b64 s[2:3], s[52:53]
	s_cbranch_execz .LBB8_66
; %bb.65:                               ;   in Loop: Header=BB8_63 Depth=2
	s_add_u32 s52, s42, s20
	s_addc_u32 s53, s43, s21
	v_mov_b32_e32 v14, s52
	v_mov_b32_e32 v15, s53
	flat_load_dword v8, v[14:15]
	ds_read_b32 v14, v10
	s_waitcnt vmcnt(0) lgkmcnt(0)
	v_div_scale_f32 v15, s[52:53], v8, v8, v14
	v_div_scale_f32 v16, vcc, v14, v8, v14
	v_rcp_f32_e32 v17, v15
	v_fma_f32 v18, -v15, v17, 1.0
	v_fmac_f32_e32 v17, v18, v17
	v_mul_f32_e32 v18, v16, v17
	v_fma_f32 v19, -v15, v18, v16
	v_fmac_f32_e32 v18, v19, v17
	v_fma_f32 v15, -v15, v18, v16
	v_div_fmas_f32 v15, v15, v17, v18
	v_div_fixup_f32 v8, v15, v8, v14
	ds_write_b32 v10, v8
.LBB8_66:                               ;   in Loop: Header=BB8_63 Depth=2
	s_or_b64 exec, exec, s[2:3]
	v_cmp_lt_u32_e32 vcc, s45, v0
	v_cmp_ge_i32_e64 s[2:3], s46, v7
	s_and_b64 s[52:53], s[38:39], vcc
	s_and_b64 s[52:53], s[52:53], s[2:3]
	s_waitcnt lgkmcnt(0)
	s_barrier
	s_and_saveexec_b64 s[2:3], s[52:53]
	s_cbranch_execz .LBB8_68
; %bb.67:                               ;   in Loop: Header=BB8_63 Depth=2
	v_mov_b32_e32 v8, s21
	v_add_co_u32_e32 v14, vcc, s20, v5
	v_addc_co_u32_e32 v15, vcc, v6, v8, vcc
	flat_load_dword v8, v[14:15]
	v_mov_b32_e32 v14, s44
	ds_read_b32 v14, v14
	ds_read_b32 v15, v10
	s_waitcnt vmcnt(0) lgkmcnt(0)
	v_fma_f32 v8, -v8, v14, v15
	ds_write_b32 v10, v8
.LBB8_68:                               ;   in Loop: Header=BB8_63 Depth=2
	s_or_b64 exec, exec, s[2:3]
	s_add_i32 s46, s46, 1
	s_cmp_ge_i32 s46, s9
	s_cbranch_scc1 .LBB8_62
; %bb.69:                               ;   in Loop: Header=BB8_63 Depth=2
	s_add_i32 s45, s45, 1
	v_cmp_eq_u32_e32 vcc, s45, v0
	s_and_b64 s[52:53], s[36:37], vcc
	s_and_saveexec_b64 s[2:3], s[52:53]
	s_cbranch_execz .LBB8_71
; %bb.70:                               ;   in Loop: Header=BB8_63 Depth=2
	s_add_u32 s52, s40, s20
	s_addc_u32 s53, s41, s21
	v_mov_b32_e32 v14, s52
	v_mov_b32_e32 v15, s53
	flat_load_dword v8, v[14:15]
	ds_read_b32 v14, v10
	s_waitcnt vmcnt(0) lgkmcnt(0)
	v_div_scale_f32 v15, s[52:53], v8, v8, v14
	v_div_scale_f32 v16, vcc, v14, v8, v14
	v_rcp_f32_e32 v17, v15
	v_fma_f32 v18, -v15, v17, 1.0
	v_fmac_f32_e32 v17, v18, v17
	v_mul_f32_e32 v18, v16, v17
	v_fma_f32 v19, -v15, v18, v16
	v_fmac_f32_e32 v18, v19, v17
	v_fma_f32 v15, -v15, v18, v16
	v_div_fmas_f32 v15, v15, v17, v18
	v_div_fixup_f32 v8, v15, v8, v14
	ds_write_b32 v10, v8
.LBB8_71:                               ;   in Loop: Header=BB8_63 Depth=2
	s_or_b64 exec, exec, s[2:3]
	v_cmp_lt_u32_e32 vcc, s45, v0
	v_cmp_ge_i32_e64 s[2:3], s46, v7
	s_and_b64 s[46:47], s[38:39], vcc
	s_and_b64 s[46:47], s[46:47], s[2:3]
	s_waitcnt lgkmcnt(0)
	s_barrier
	s_and_saveexec_b64 s[2:3], s[46:47]
	s_cbranch_execz .LBB8_73
; %bb.72:                               ;   in Loop: Header=BB8_63 Depth=2
	v_mov_b32_e32 v8, s21
	v_add_co_u32_e32 v14, vcc, s20, v5
	v_addc_co_u32_e32 v15, vcc, v6, v8, vcc
	flat_load_dword v8, v[14:15] offset:4
	v_mov_b32_e32 v14, s44
	ds_read_b32 v14, v14 offset:4
	ds_read_b32 v15, v10
	s_waitcnt vmcnt(0) lgkmcnt(0)
	v_fma_f32 v8, -v8, v14, v15
	ds_write_b32 v10, v8
.LBB8_73:                               ;   in Loop: Header=BB8_63 Depth=2
	s_or_b64 exec, exec, s[2:3]
	s_add_i32 s44, s44, 8
	s_add_u32 s40, s40, s30
	s_addc_u32 s41, s41, s31
	s_add_u32 s42, s42, s30
	s_addc_u32 s43, s43, s31
	s_add_i32 s45, s45, 1
	v_add_co_u32_e32 v5, vcc, 8, v5
	s_cmpk_eq_i32 s45, 0x200
	v_addc_co_u32_e32 v6, vcc, 0, v6, vcc
	s_cselect_b64 s[2:3], -1, 0
	s_and_b64 vcc, exec, s[2:3]
	s_cbranch_vccz .LBB8_63
.LBB8_74:                               ;   in Loop: Header=BB8_59 Depth=1
	s_add_i32 s51, s50, 0x200
	s_cmp_ge_i32 s51, s9
	s_cselect_b64 s[2:3], -1, 0
	s_and_b64 vcc, exec, s[2:3]
	s_waitcnt lgkmcnt(0)
	s_barrier
	s_cbranch_vccnz .LBB8_106
; %bb.75:                               ;   in Loop: Header=BB8_59 Depth=1
	v_mad_i64_i32 v[5:6], s[38:39], v9, -4, v[3:4]
	s_mov_b64 s[38:39], 0
	v_mov_b32_e32 v14, v0
	s_mov_b32 s52, s51
                                        ; implicit-def: $sgpr40_sgpr41
	s_branch .LBB8_78
.LBB8_76:                               ;   in Loop: Header=BB8_78 Depth=2
	v_mad_u64_u32 v[7:8], s[44:45], s6, v16, 0
	s_addk_i32 s52, 0x200
	s_cmp_ge_i32 s52, s9
	v_mad_u64_u32 v[16:17], s[44:45], s7, v16, v[8:9]
	v_mov_b32_e32 v17, s33
	s_cselect_b64 s[44:45], -1, 0
	v_mov_b32_e32 v8, v16
	v_lshlrev_b64 v[7:8], 2, v[7:8]
	s_andn2_b64 s[40:41], s[40:41], exec
	v_add_co_u32_e32 v7, vcc, s8, v7
	v_addc_co_u32_e32 v8, vcc, v17, v8, vcc
	flat_load_dword v16, v[7:8]
	v_mov_b32_e32 v17, s49
	v_add_co_u32_e32 v5, vcc, s48, v5
	s_and_b64 s[44:45], s[44:45], exec
	v_addc_co_u32_e32 v6, vcc, v6, v17, vcc
	s_or_b64 s[40:41], s[40:41], s[44:45]
	s_waitcnt vmcnt(0) lgkmcnt(0)
	v_sub_f32_e32 v15, v16, v15
	flat_store_dword v[7:8], v15
.LBB8_77:                               ;   in Loop: Header=BB8_78 Depth=2
	s_or_b64 exec, exec, s[42:43]
	s_and_b64 s[42:43], exec, s[40:41]
	s_or_b64 s[38:39], s[42:43], s[38:39]
	s_andn2_b64 exec, exec, s[38:39]
	s_cbranch_execz .LBB8_105
.LBB8_78:                               ;   Parent Loop BB8_59 Depth=1
                                        ; =>  This Loop Header: Depth=2
                                        ;       Child Loop BB8_81 Depth 3
	v_add_u32_e32 v16, s52, v0
	v_cmp_gt_i32_e32 vcc, s9, v16
	s_or_b64 s[40:41], s[40:41], exec
	s_and_saveexec_b64 s[42:43], vcc
	s_cbranch_execz .LBB8_77
; %bb.79:                               ;   in Loop: Header=BB8_78 Depth=2
	v_mov_b32_e32 v8, v6
	v_subrev_u32_e32 v17, s10, v16
	v_add_u32_e32 v18, 0x1fd, v14
	v_add_u32_e32 v19, 0x1fe, v14
	;; [unrolled: 1-line block ×4, first 2 shown]
	v_mov_b32_e32 v15, 0
	s_mov_b32 s53, 0
	s_movk_i32 s54, 0x800
	v_mov_b32_e32 v7, v5
	s_branch .LBB8_81
.LBB8_80:                               ;   in Loop: Header=BB8_81 Depth=3
	s_or_b64 exec, exec, s[44:45]
	s_add_i32 s53, s53, 4
	s_add_i32 s54, s54, 16
	v_add_co_u32_e32 v7, vcc, 16, v7
	s_cmpk_eq_i32 s53, 0x200
	v_addc_co_u32_e32 v8, vcc, 0, v8, vcc
	s_cbranch_scc1 .LBB8_76
.LBB8_81:                               ;   Parent Loop BB8_59 Depth=1
                                        ;     Parent Loop BB8_78 Depth=2
                                        ; =>    This Inner Loop Header: Depth=3
	v_cmp_ne_u32_e32 vcc, s53, v14
	s_add_i32 s55, s50, s53
	s_or_b64 s[44:45], s[36:37], vcc
	s_and_saveexec_b64 s[46:47], s[44:45]
	s_xor_b64 s[44:45], exec, s[46:47]
	s_cbranch_execz .LBB8_85
; %bb.82:                               ;   in Loop: Header=BB8_81 Depth=3
	s_cmp_lt_i32 s55, s9
	s_cselect_b64 s[46:47], -1, 0
	v_cmp_ge_i32_e32 vcc, s55, v17
	s_and_b64 s[56:57], s[46:47], vcc
	s_and_saveexec_b64 s[46:47], s[56:57]
	s_cbranch_execz .LBB8_84
; %bb.83:                               ;   in Loop: Header=BB8_81 Depth=3
	flat_load_dword v21, v[7:8]
	v_mov_b32_e32 v22, s54
	ds_read_b32 v22, v22
	s_waitcnt vmcnt(0) lgkmcnt(0)
	v_fmac_f32_e32 v15, v21, v22
.LBB8_84:                               ;   in Loop: Header=BB8_81 Depth=3
	s_or_b64 exec, exec, s[46:47]
.LBB8_85:                               ;   in Loop: Header=BB8_81 Depth=3
	s_andn2_saveexec_b64 s[44:45], s[44:45]
	s_cbranch_execz .LBB8_87
; %bb.86:                               ;   in Loop: Header=BB8_81 Depth=3
	v_mov_b32_e32 v21, s54
	ds_read_b32 v21, v21
	s_waitcnt lgkmcnt(0)
	v_add_f32_e32 v15, v15, v21
.LBB8_87:                               ;   in Loop: Header=BB8_81 Depth=3
	s_or_b64 exec, exec, s[44:45]
	v_cmp_ne_u32_e32 vcc, s53, v20
	s_or_b64 s[44:45], s[36:37], vcc
	s_and_saveexec_b64 s[46:47], s[44:45]
	s_xor_b64 s[44:45], exec, s[46:47]
	s_cbranch_execz .LBB8_91
; %bb.88:                               ;   in Loop: Header=BB8_81 Depth=3
	s_add_i32 s56, s55, 1
	s_cmp_lt_i32 s56, s9
	s_cselect_b64 s[46:47], -1, 0
	v_cmp_ge_i32_e32 vcc, s56, v17
	s_and_b64 s[56:57], s[46:47], vcc
	s_and_saveexec_b64 s[46:47], s[56:57]
	s_cbranch_execz .LBB8_90
; %bb.89:                               ;   in Loop: Header=BB8_81 Depth=3
	flat_load_dword v21, v[7:8] offset:4
	v_mov_b32_e32 v22, s54
	ds_read_b32 v22, v22 offset:4
	s_waitcnt vmcnt(0) lgkmcnt(0)
	v_fmac_f32_e32 v15, v21, v22
.LBB8_90:                               ;   in Loop: Header=BB8_81 Depth=3
	s_or_b64 exec, exec, s[46:47]
.LBB8_91:                               ;   in Loop: Header=BB8_81 Depth=3
	s_andn2_saveexec_b64 s[44:45], s[44:45]
	s_cbranch_execz .LBB8_93
; %bb.92:                               ;   in Loop: Header=BB8_81 Depth=3
	v_mov_b32_e32 v21, s54
	ds_read_b32 v21, v21 offset:4
	s_waitcnt lgkmcnt(0)
	v_add_f32_e32 v15, v15, v21
.LBB8_93:                               ;   in Loop: Header=BB8_81 Depth=3
	s_or_b64 exec, exec, s[44:45]
	v_cmp_ne_u32_e32 vcc, s53, v19
	s_or_b64 s[44:45], s[36:37], vcc
	s_and_saveexec_b64 s[46:47], s[44:45]
	s_xor_b64 s[44:45], exec, s[46:47]
	s_cbranch_execz .LBB8_97
; %bb.94:                               ;   in Loop: Header=BB8_81 Depth=3
	s_add_i32 s56, s55, 2
	s_cmp_lt_i32 s56, s9
	s_cselect_b64 s[46:47], -1, 0
	v_cmp_ge_i32_e32 vcc, s56, v17
	s_and_b64 s[56:57], s[46:47], vcc
	s_and_saveexec_b64 s[46:47], s[56:57]
	s_cbranch_execz .LBB8_96
; %bb.95:                               ;   in Loop: Header=BB8_81 Depth=3
	flat_load_dword v21, v[7:8] offset:8
	v_mov_b32_e32 v22, s54
	ds_read_b32 v22, v22 offset:8
	s_waitcnt vmcnt(0) lgkmcnt(0)
	v_fmac_f32_e32 v15, v21, v22
.LBB8_96:                               ;   in Loop: Header=BB8_81 Depth=3
	s_or_b64 exec, exec, s[46:47]
.LBB8_97:                               ;   in Loop: Header=BB8_81 Depth=3
	s_andn2_saveexec_b64 s[44:45], s[44:45]
	s_cbranch_execz .LBB8_99
; %bb.98:                               ;   in Loop: Header=BB8_81 Depth=3
	v_mov_b32_e32 v21, s54
	ds_read_b32 v21, v21 offset:8
	s_waitcnt lgkmcnt(0)
	v_add_f32_e32 v15, v15, v21
.LBB8_99:                               ;   in Loop: Header=BB8_81 Depth=3
	s_or_b64 exec, exec, s[44:45]
	v_cmp_ne_u32_e32 vcc, s53, v18
	s_or_b64 s[44:45], s[36:37], vcc
	s_and_saveexec_b64 s[46:47], s[44:45]
	s_xor_b64 s[44:45], exec, s[46:47]
	s_cbranch_execz .LBB8_103
; %bb.100:                              ;   in Loop: Header=BB8_81 Depth=3
	s_add_i32 s55, s55, 3
	s_cmp_lt_i32 s55, s9
	s_cselect_b64 s[46:47], -1, 0
	v_cmp_ge_i32_e32 vcc, s55, v17
	s_and_b64 s[56:57], s[46:47], vcc
	s_and_saveexec_b64 s[46:47], s[56:57]
	s_cbranch_execz .LBB8_102
; %bb.101:                              ;   in Loop: Header=BB8_81 Depth=3
	flat_load_dword v21, v[7:8] offset:12
	v_mov_b32_e32 v22, s54
	ds_read_b32 v22, v22 offset:12
	s_waitcnt vmcnt(0) lgkmcnt(0)
	v_fmac_f32_e32 v15, v21, v22
.LBB8_102:                              ;   in Loop: Header=BB8_81 Depth=3
	s_or_b64 exec, exec, s[46:47]
.LBB8_103:                              ;   in Loop: Header=BB8_81 Depth=3
	s_andn2_saveexec_b64 s[44:45], s[44:45]
	s_cbranch_execz .LBB8_80
; %bb.104:                              ;   in Loop: Header=BB8_81 Depth=3
	v_mov_b32_e32 v21, s54
	ds_read_b32 v21, v21 offset:12
	s_waitcnt lgkmcnt(0)
	v_add_f32_e32 v15, v15, v21
	s_branch .LBB8_80
.LBB8_105:                              ;   in Loop: Header=BB8_59 Depth=1
	s_or_b64 exec, exec, s[38:39]
.LBB8_106:                              ;   in Loop: Header=BB8_59 Depth=1
	s_and_saveexec_b64 s[38:39], s[0:1]
	s_cbranch_execz .LBB8_58
; %bb.107:                              ;   in Loop: Header=BB8_59 Depth=1
	v_mad_u64_u32 v[5:6], s[0:1], s6, v13, 0
	v_mov_b32_e32 v8, s33
	v_mad_u64_u32 v[6:7], s[0:1], s7, v13, v[6:7]
	ds_read_b32 v7, v10
	v_lshlrev_b64 v[5:6], 2, v[5:6]
	v_add_co_u32_e32 v5, vcc, s8, v5
	v_addc_co_u32_e32 v6, vcc, v8, v6, vcc
	s_waitcnt lgkmcnt(0)
	flat_store_dword v[5:6], v7
	s_branch .LBB8_58
.LBB8_108:
	s_mov_b64 s[0:1], 0
.LBB8_109:
	s_andn2_b64 vcc, exec, s[0:1]
	s_cbranch_vccnz .LBB8_183
; %bb.110:
	s_mov_b64 s[0:1], -1
	s_and_b64 vcc, exec, s[24:25]
	s_cbranch_vccz .LBB8_147
; %bb.111:
	s_andn2_b64 vcc, exec, s[22:23]
	s_cbranch_vccnz .LBB8_146
; %bb.112:
	s_lshl_b64 s[24:25], s[16:17], 11
	s_lshl_b64 s[26:27], s[16:17], 2
	s_add_u32 s28, s12, s26
	s_addc_u32 s29, s13, s27
	s_lshl_b64 s[0:1], s[16:17], 3
	s_add_u32 s11, s0, -8
	v_lshlrev_b32_e32 v7, 2, v0
	v_or_b32_e32 v8, 0x200, v0
	s_addc_u32 s58, s1, -1
	s_mov_b32 s59, 0
	s_mov_b64 s[30:31], -1
	s_mov_b64 s[34:35], 0
	s_xor_b64 s[36:37], s[18:19], -1
	v_mov_b32_e32 v2, 0
	s_mov_b64 s[38:39], 0
	s_mov_b64 s[40:41], s[4:5]
	s_branch .LBB8_114
.LBB8_113:                              ;   in Loop: Header=BB8_114 Depth=1
	s_or_b64 exec, exec, s[42:43]
	s_add_u32 s40, s40, s24
	s_addc_u32 s41, s41, s25
	s_add_u32 s30, s30, 0xfffffe00
	s_addc_u32 s31, s31, -1
	s_add_u32 s38, s38, s24
	s_addc_u32 s39, s39, s25
	s_add_u32 s34, s34, 0xfffffe00
	v_add_u32_e32 v8, 0x200, v8
	s_addc_u32 s35, s35, -1
	s_and_b64 vcc, exec, s[2:3]
	s_mov_b32 s59, s60
	s_waitcnt vmcnt(0) lgkmcnt(0)
	s_barrier
	s_cbranch_vccnz .LBB8_146
.LBB8_114:                              ; =>This Loop Header: Depth=1
                                        ;     Child Loop BB8_118 Depth 2
                                        ;     Child Loop BB8_128 Depth 2
                                        ;       Child Loop BB8_131 Depth 3
	v_add_u32_e32 v9, s59, v0
	v_cmp_le_i32_e32 vcc, s9, v9
	v_cmp_gt_i32_e64 s[0:1], s9, v9
	s_and_saveexec_b64 s[42:43], s[0:1]
	s_cbranch_execz .LBB8_116
; %bb.115:                              ;   in Loop: Header=BB8_114 Depth=1
	v_mad_u64_u32 v[3:4], s[2:3], s6, v9, 0
	v_mov_b32_e32 v1, v4
	v_mad_u64_u32 v[4:5], s[2:3], s7, v9, v[1:2]
	v_mov_b32_e32 v1, s33
	v_lshlrev_b64 v[3:4], 2, v[3:4]
	v_add_co_u32_e64 v3, s[2:3], s8, v3
	v_addc_co_u32_e64 v4, s[2:3], v1, v4, s[2:3]
	flat_load_dword v1, v[3:4]
	s_waitcnt vmcnt(0) lgkmcnt(0)
	ds_write_b32 v7, v1
.LBB8_116:                              ;   in Loop: Header=BB8_114 Depth=1
	s_or_b64 exec, exec, s[42:43]
	v_subrev_u32_e32 v3, s10, v9
	s_mov_b32 s46, 0
	s_xor_b64 s[42:43], vcc, -1
	s_mov_b64 s[44:45], s[40:41]
	v_mov_b32_e32 v1, v0
	s_mov_b32 s47, 0
	s_waitcnt lgkmcnt(0)
	s_barrier
	s_branch .LBB8_118
.LBB8_117:                              ;   in Loop: Header=BB8_118 Depth=2
	s_or_b64 exec, exec, s[2:3]
	s_add_i32 s47, s47, 1
	s_add_i32 s46, s46, 4
	s_add_u32 s44, s44, s26
	s_addc_u32 s45, s45, s27
	s_cmpk_eq_i32 s47, 0x200
	v_add_u32_e32 v1, -1, v1
	s_cselect_b64 s[2:3], -1, 0
	s_and_b64 vcc, exec, s[2:3]
	s_cbranch_vccnz .LBB8_124
.LBB8_118:                              ;   Parent Loop BB8_114 Depth=1
                                        ; =>  This Inner Loop Header: Depth=2
	s_add_i32 s48, s59, s47
	s_cmp_ge_i32 s48, s9
	s_cbranch_scc1 .LBB8_123
; %bb.119:                              ;   in Loop: Header=BB8_118 Depth=2
	v_cmp_eq_u32_e32 vcc, s47, v0
	s_and_b64 s[50:51], s[36:37], vcc
	s_and_saveexec_b64 s[2:3], s[50:51]
	s_cbranch_execz .LBB8_121
; %bb.120:                              ;   in Loop: Header=BB8_118 Depth=2
	v_mov_b32_e32 v4, s44
	v_mov_b32_e32 v5, s45
	flat_load_dword v4, v[4:5]
	ds_read_b32 v5, v7
	s_waitcnt vmcnt(0) lgkmcnt(0)
	v_div_scale_f32 v6, s[50:51], v4, v4, v5
	v_div_scale_f32 v10, vcc, v5, v4, v5
	v_rcp_f32_e32 v11, v6
	v_fma_f32 v12, -v6, v11, 1.0
	v_fmac_f32_e32 v11, v12, v11
	v_mul_f32_e32 v12, v10, v11
	v_fma_f32 v13, -v6, v12, v10
	v_fmac_f32_e32 v12, v13, v11
	v_fma_f32 v6, -v6, v12, v10
	v_div_fmas_f32 v6, v6, v11, v12
	v_div_fixup_f32 v4, v6, v4, v5
	ds_write_b32 v7, v4
.LBB8_121:                              ;   in Loop: Header=BB8_118 Depth=2
	s_or_b64 exec, exec, s[2:3]
	v_cmp_lt_u32_e32 vcc, s47, v0
	v_cmp_ge_i32_e64 s[2:3], s48, v3
	s_and_b64 s[48:49], s[42:43], vcc
	s_and_b64 s[48:49], s[48:49], s[2:3]
	s_waitcnt lgkmcnt(0)
	s_barrier
	s_and_saveexec_b64 s[2:3], s[48:49]
	s_cbranch_execz .LBB8_117
; %bb.122:                              ;   in Loop: Header=BB8_118 Depth=2
	v_lshlrev_b64 v[4:5], 2, v[1:2]
	v_mov_b32_e32 v6, s45
	v_add_co_u32_e32 v4, vcc, s44, v4
	v_addc_co_u32_e32 v5, vcc, v6, v5, vcc
	flat_load_dword v4, v[4:5]
	v_mov_b32_e32 v5, s46
	ds_read_b32 v5, v5
	ds_read_b32 v6, v7
	s_waitcnt vmcnt(0) lgkmcnt(0)
	v_fma_f32 v4, -v4, v5, v6
	ds_write_b32 v7, v4
	s_branch .LBB8_117
.LBB8_123:                              ;   in Loop: Header=BB8_118 Depth=2
                                        ; implicit-def: $sgpr47
                                        ; implicit-def: $sgpr46
                                        ; implicit-def: $sgpr44_sgpr45
	s_cbranch_execz .LBB8_118
.LBB8_124:                              ;   in Loop: Header=BB8_114 Depth=1
	s_add_i32 s60, s59, 0x200
	s_cmp_ge_i32 s60, s9
	s_cselect_b64 s[2:3], -1, 0
	s_and_b64 vcc, exec, s[2:3]
	s_waitcnt lgkmcnt(0)
	s_barrier
	s_cbranch_vccnz .LBB8_144
; %bb.125:                              ;   in Loop: Header=BB8_114 Depth=1
	v_ashrrev_i32_e32 v1, 31, v8
	v_mov_b32_e32 v4, s31
	v_add_co_u32_e32 v3, vcc, s30, v8
	v_addc_co_u32_e32 v4, vcc, v4, v1, vcc
	v_mov_b32_e32 v6, s35
	v_add_co_u32_e32 v5, vcc, s34, v8
	v_addc_co_u32_e32 v6, vcc, v6, v1, vcc
	v_lshlrev_b64 v[3:4], 2, v[3:4]
	v_lshlrev_b64 v[5:6], 2, v[5:6]
	s_mov_b64 s[42:43], 0
	s_mov_b64 s[44:45], s[38:39]
	v_mov_b32_e32 v1, v0
	s_mov_b32 s61, s60
                                        ; implicit-def: $sgpr46_sgpr47
	s_branch .LBB8_128
.LBB8_126:                              ;   in Loop: Header=BB8_128 Depth=2
	v_mad_u64_u32 v[12:13], s[50:51], s6, v11, 0
	s_addk_i32 s61, 0x200
	s_add_u32 s44, s44, 0x800
	v_mad_u64_u32 v[13:14], s[50:51], s7, v11, v[13:14]
	v_mov_b32_e32 v14, s33
	s_addc_u32 s45, s45, 0
	v_lshlrev_b64 v[11:12], 2, v[12:13]
	s_cmp_ge_i32 s61, s9
	v_add_co_u32_e32 v11, vcc, s8, v11
	v_addc_co_u32_e32 v12, vcc, v14, v12, vcc
	flat_load_dword v13, v[11:12]
	s_cselect_b64 s[50:51], -1, 0
	s_andn2_b64 s[46:47], s[46:47], exec
	s_and_b64 s[50:51], s[50:51], exec
	s_or_b64 s[46:47], s[46:47], s[50:51]
	s_waitcnt vmcnt(0) lgkmcnt(0)
	v_sub_f32_e32 v10, v13, v10
	flat_store_dword v[11:12], v10
.LBB8_127:                              ;   in Loop: Header=BB8_128 Depth=2
	s_or_b64 exec, exec, s[48:49]
	s_and_b64 s[48:49], exec, s[46:47]
	s_or_b64 s[42:43], s[48:49], s[42:43]
	s_andn2_b64 exec, exec, s[42:43]
	s_cbranch_execz .LBB8_143
.LBB8_128:                              ;   Parent Loop BB8_114 Depth=1
                                        ; =>  This Loop Header: Depth=2
                                        ;       Child Loop BB8_131 Depth 3
	v_add_u32_e32 v11, s61, v0
	v_cmp_gt_i32_e32 vcc, s9, v11
	s_or_b64 s[46:47], s[46:47], exec
	s_and_saveexec_b64 s[48:49], vcc
	s_cbranch_execz .LBB8_127
; %bb.129:                              ;   in Loop: Header=BB8_128 Depth=2
	v_subrev_u32_e32 v12, s10, v11
	v_add_u32_e32 v13, 0x1ff, v1
	v_add_u32_e32 v1, 0x200, v1
	v_mov_b32_e32 v10, 0
	s_mov_b32 s62, 0
	s_mov_b64 s[50:51], s[12:13]
	s_mov_b64 s[52:53], s[28:29]
	s_mov_b32 s63, 0
	s_branch .LBB8_131
.LBB8_130:                              ;   in Loop: Header=BB8_131 Depth=3
	s_or_b64 exec, exec, s[54:55]
	s_add_i32 s63, s63, 2
	s_add_u32 s52, s52, s11
	s_addc_u32 s53, s53, s58
	s_add_i32 s62, s62, 8
	s_add_u32 s50, s50, s11
	s_addc_u32 s51, s51, s58
	s_cmpk_eq_i32 s63, 0x200
	s_cbranch_scc1 .LBB8_126
.LBB8_131:                              ;   Parent Loop BB8_114 Depth=1
                                        ;     Parent Loop BB8_128 Depth=2
                                        ; =>    This Inner Loop Header: Depth=3
	v_cmp_ne_u32_e32 vcc, s63, v1
	s_add_i32 s64, s59, s63
	s_or_b64 s[54:55], s[36:37], vcc
	s_and_saveexec_b64 s[56:57], s[54:55]
	s_xor_b64 s[54:55], exec, s[56:57]
	s_cbranch_execz .LBB8_135
; %bb.132:                              ;   in Loop: Header=BB8_131 Depth=3
	s_cmp_lt_i32 s64, s9
	s_cselect_b64 s[56:57], -1, 0
	v_cmp_ge_i32_e32 vcc, s64, v12
	s_and_b64 s[66:67], s[56:57], vcc
	s_and_saveexec_b64 s[56:57], s[66:67]
	s_cbranch_execz .LBB8_134
; %bb.133:                              ;   in Loop: Header=BB8_131 Depth=3
	s_add_u32 s65, s50, s20
	s_addc_u32 s66, s51, s21
	v_mov_b32_e32 v14, s66
	v_add_co_u32_e32 v15, vcc, s65, v5
	v_addc_co_u32_e32 v16, vcc, v14, v6, vcc
	v_mov_b32_e32 v17, s45
	v_add_co_u32_e32 v14, vcc, s44, v15
	v_addc_co_u32_e32 v15, vcc, v16, v17, vcc
	flat_load_dword v14, v[14:15]
	v_mov_b32_e32 v15, s62
	ds_read_b32 v15, v15
	s_waitcnt vmcnt(0) lgkmcnt(0)
	v_fmac_f32_e32 v10, v14, v15
.LBB8_134:                              ;   in Loop: Header=BB8_131 Depth=3
	s_or_b64 exec, exec, s[56:57]
.LBB8_135:                              ;   in Loop: Header=BB8_131 Depth=3
	s_andn2_saveexec_b64 s[54:55], s[54:55]
	s_cbranch_execz .LBB8_137
; %bb.136:                              ;   in Loop: Header=BB8_131 Depth=3
	v_mov_b32_e32 v14, s62
	ds_read_b32 v14, v14
	s_waitcnt lgkmcnt(0)
	v_add_f32_e32 v10, v10, v14
.LBB8_137:                              ;   in Loop: Header=BB8_131 Depth=3
	s_or_b64 exec, exec, s[54:55]
	v_cmp_ne_u32_e32 vcc, s63, v13
	s_or_b64 s[54:55], s[36:37], vcc
	s_and_saveexec_b64 s[56:57], s[54:55]
	s_xor_b64 s[54:55], exec, s[56:57]
	s_cbranch_execz .LBB8_141
; %bb.138:                              ;   in Loop: Header=BB8_131 Depth=3
	s_add_i32 s64, s64, 1
	s_cmp_lt_i32 s64, s9
	s_cselect_b64 s[56:57], -1, 0
	v_cmp_ge_i32_e32 vcc, s64, v12
	s_and_b64 s[64:65], s[56:57], vcc
	s_and_saveexec_b64 s[56:57], s[64:65]
	s_cbranch_execz .LBB8_140
; %bb.139:                              ;   in Loop: Header=BB8_131 Depth=3
	s_add_u32 s64, s52, s20
	s_addc_u32 s65, s53, s21
	v_mov_b32_e32 v14, s65
	v_add_co_u32_e32 v15, vcc, s64, v3
	v_addc_co_u32_e32 v16, vcc, v14, v4, vcc
	v_mov_b32_e32 v17, s45
	v_add_co_u32_e32 v14, vcc, s44, v15
	v_addc_co_u32_e32 v15, vcc, v16, v17, vcc
	flat_load_dword v14, v[14:15]
	v_mov_b32_e32 v15, s62
	ds_read_b32 v15, v15 offset:4
	s_waitcnt vmcnt(0) lgkmcnt(0)
	v_fmac_f32_e32 v10, v14, v15
.LBB8_140:                              ;   in Loop: Header=BB8_131 Depth=3
	s_or_b64 exec, exec, s[56:57]
.LBB8_141:                              ;   in Loop: Header=BB8_131 Depth=3
	s_andn2_saveexec_b64 s[54:55], s[54:55]
	s_cbranch_execz .LBB8_130
; %bb.142:                              ;   in Loop: Header=BB8_131 Depth=3
	v_mov_b32_e32 v14, s62
	ds_read_b32 v14, v14 offset:4
	s_waitcnt lgkmcnt(0)
	v_add_f32_e32 v10, v10, v14
	s_branch .LBB8_130
.LBB8_143:                              ;   in Loop: Header=BB8_114 Depth=1
	s_or_b64 exec, exec, s[42:43]
.LBB8_144:                              ;   in Loop: Header=BB8_114 Depth=1
	s_and_saveexec_b64 s[42:43], s[0:1]
	s_cbranch_execz .LBB8_113
; %bb.145:                              ;   in Loop: Header=BB8_114 Depth=1
	v_mad_u64_u32 v[3:4], s[0:1], s6, v9, 0
	v_mov_b32_e32 v1, v4
	v_mad_u64_u32 v[4:5], s[0:1], s7, v9, v[1:2]
	ds_read_b32 v1, v7
	v_mov_b32_e32 v5, s33
	v_lshlrev_b64 v[3:4], 2, v[3:4]
	v_add_co_u32_e32 v3, vcc, s8, v3
	v_addc_co_u32_e32 v4, vcc, v5, v4, vcc
	s_waitcnt lgkmcnt(0)
	flat_store_dword v[3:4], v1
	s_branch .LBB8_113
.LBB8_146:
	s_mov_b64 s[0:1], 0
.LBB8_147:
	s_andn2_b64 vcc, exec, s[0:1]
	s_cbranch_vccnz .LBB8_183
; %bb.148:
	s_andn2_b64 vcc, exec, s[22:23]
	s_cbranch_vccnz .LBB8_183
; %bb.149:
	s_ashr_i32 s11, s10, 31
	s_add_i32 s26, s9, 0xfffffe00
	s_add_i32 s22, s9, -1
	s_lshl_b64 s[0:1], s[10:11], 2
	s_add_u32 s2, s20, s0
	s_addc_u32 s3, s21, s1
	s_ashr_i32 s23, s22, 31
	s_lshl_b64 s[0:1], s[22:23], 2
	s_sub_u32 s0, s2, s0
	s_subb_u32 s1, s3, s1
	s_add_u32 s20, s12, s0
	s_addc_u32 s21, s13, s1
	s_lshl_b64 s[24:25], s[16:17], 2
	s_add_u32 s23, s24, 4
	s_addc_u32 s36, s25, 0
	s_sub_i32 s0, s10, s9
	s_add_i32 s37, s0, 0x1ff
	s_add_u32 s0, s14, s10
	s_addc_u32 s1, s15, s11
	s_ashr_i32 s3, s9, 31
	s_mov_b32 s2, s9
	s_lshl_b64 s[0:1], s[0:1], 2
	s_lshl_b64 s[2:3], s[2:3], 2
	s_sub_u32 s0, s0, s2
	s_subb_u32 s1, s1, s3
	s_add_u32 s0, s12, s0
	s_addc_u32 s1, s13, s1
	s_add_u32 s11, s0, 0x800
	s_addc_u32 s38, s1, 0
	s_lshl_b64 s[0:1], s[16:17], 3
	v_mov_b32_e32 v1, 0x1000
	v_add_u32_e32 v2, s9, v0
	s_add_u32 s39, s0, -8
	v_lshl_or_b32 v8, v0, 2, v1
	v_add_u32_e32 v1, 0xfffffe00, v2
	v_add_u32_e32 v9, 0xfffffc00, v2
	s_addc_u32 s40, s1, -1
	v_mov_b32_e32 v3, 0
	s_xor_b64 s[12:13], s[18:19], -1
	s_branch .LBB8_151
.LBB8_150:                              ;   in Loop: Header=BB8_151 Depth=1
	s_or_b64 exec, exec, s[14:15]
	s_addk_i32 s22, 0xfe00
	s_add_u32 s20, s20, 0x800
	s_addc_u32 s21, s21, 0
	s_addk_i32 s9, 0xfe00
	s_addk_i32 s37, 0x200
	s_add_u32 s11, s11, 0x800
	v_add_u32_e32 v1, 0xfffffe00, v1
	s_addc_u32 s38, s38, 0
	v_add_u32_e32 v9, 0xfffffe00, v9
	s_and_b64 vcc, exec, s[2:3]
	s_mov_b32 s26, s41
	s_waitcnt vmcnt(0) lgkmcnt(0)
	s_barrier
	s_cbranch_vccnz .LBB8_183
.LBB8_151:                              ; =>This Loop Header: Depth=1
                                        ;     Child Loop BB8_156 Depth 2
                                        ;     Child Loop BB8_165 Depth 2
                                        ;       Child Loop BB8_168 Depth 3
	v_add_u32_e32 v10, s26, v0
	v_cmp_gt_i32_e32 vcc, 0, v10
	v_cmp_lt_i32_e64 s[0:1], -1, v10
	s_and_saveexec_b64 s[14:15], s[0:1]
	s_cbranch_execz .LBB8_153
; %bb.152:                              ;   in Loop: Header=BB8_151 Depth=1
	v_mad_u64_u32 v[4:5], s[2:3], s6, v10, 0
	v_mov_b32_e32 v2, v5
	v_mad_u64_u32 v[5:6], s[2:3], s7, v10, v[2:3]
	v_mov_b32_e32 v2, s33
	v_lshlrev_b64 v[4:5], 2, v[4:5]
	v_add_co_u32_e64 v4, s[2:3], s8, v4
	v_addc_co_u32_e64 v5, s[2:3], v2, v5, s[2:3]
	flat_load_dword v2, v[4:5]
	s_waitcnt vmcnt(0) lgkmcnt(0)
	ds_write_b32 v8, v2
.LBB8_153:                              ;   in Loop: Header=BB8_151 Depth=1
	s_or_b64 exec, exec, s[14:15]
	v_mov_b32_e32 v2, v3
	v_lshlrev_b64 v[4:5], 2, v[1:2]
	v_mov_b32_e32 v2, s21
	v_add_co_u32_e64 v4, s[2:3], s20, v4
	v_mov_b32_e32 v6, s20
	v_addc_co_u32_e64 v5, s[2:3], v2, v5, s[2:3]
	v_add_u32_e32 v2, s10, v10
	s_movk_i32 s18, 0x1ff
	s_movk_i32 s19, 0x17fc
	v_mov_b32_e32 v7, s21
	s_xor_b64 s[14:15], vcc, -1
	s_mov_b32 s27, s22
	s_waitcnt lgkmcnt(0)
	s_barrier
	s_branch .LBB8_156
.LBB8_154:                              ;   in Loop: Header=BB8_156 Depth=2
	s_or_b64 exec, exec, s[2:3]
	v_add_co_u32_e32 v4, vcc, 4, v4
	s_add_i32 s18, s18, -1
	s_add_i32 s19, s19, -4
	v_addc_co_u32_e32 v5, vcc, 0, v5, vcc
	s_add_i32 s27, s27, -1
	v_add_co_u32_e32 v6, vcc, 4, v6
	s_cmp_eq_u32 s18, -1
	v_addc_co_u32_e32 v7, vcc, 0, v7, vcc
	s_cselect_b64 s[2:3], -1, 0
.LBB8_155:                              ;   in Loop: Header=BB8_156 Depth=2
	s_and_b64 vcc, exec, s[2:3]
	s_cbranch_vccnz .LBB8_161
.LBB8_156:                              ;   Parent Loop BB8_151 Depth=1
                                        ; =>  This Inner Loop Header: Depth=2
	s_add_i32 s28, s22, s18
	s_addk_i32 s28, 0xfe01
	s_cmp_lt_i32 s28, 0
	s_mov_b64 s[2:3], -1
	s_cbranch_scc1 .LBB8_155
; %bb.157:                              ;   in Loop: Header=BB8_156 Depth=2
	v_cmp_eq_u32_e32 vcc, s18, v0
	s_and_b64 s[30:31], s[12:13], vcc
	s_and_saveexec_b64 s[2:3], s[30:31]
	s_cbranch_execz .LBB8_159
; %bb.158:                              ;   in Loop: Header=BB8_156 Depth=2
	s_mul_i32 s29, s36, s27
	s_mul_hi_u32 s30, s23, s27
	s_add_i32 s29, s30, s29
	s_mul_i32 s30, s23, s27
	v_mov_b32_e32 v12, s29
	v_add_co_u32_e32 v11, vcc, s30, v6
	v_addc_co_u32_e32 v12, vcc, v7, v12, vcc
	flat_load_dword v11, v[11:12]
	ds_read_b32 v12, v8
	s_waitcnt vmcnt(0) lgkmcnt(0)
	v_div_scale_f32 v13, s[30:31], v11, v11, v12
	v_div_scale_f32 v14, vcc, v12, v11, v12
	v_rcp_f32_e32 v15, v13
	v_fma_f32 v16, -v13, v15, 1.0
	v_fmac_f32_e32 v15, v16, v15
	v_mul_f32_e32 v16, v14, v15
	v_fma_f32 v17, -v13, v16, v14
	v_fmac_f32_e32 v16, v17, v15
	v_fma_f32 v13, -v13, v16, v14
	v_div_fmas_f32 v13, v13, v15, v16
	v_div_fixup_f32 v11, v13, v11, v12
	ds_write_b32 v8, v11
.LBB8_159:                              ;   in Loop: Header=BB8_156 Depth=2
	s_or_b64 exec, exec, s[2:3]
	v_cmp_gt_u32_e32 vcc, s18, v0
	v_cmp_le_i32_e64 s[2:3], s28, v2
	s_and_b64 s[28:29], s[14:15], vcc
	s_and_b64 s[28:29], s[28:29], s[2:3]
	s_waitcnt lgkmcnt(0)
	s_barrier
	s_and_saveexec_b64 s[2:3], s[28:29]
	s_cbranch_execz .LBB8_154
; %bb.160:                              ;   in Loop: Header=BB8_156 Depth=2
	v_mov_b32_e32 v11, s27
	v_mad_u64_u32 v[11:12], s[28:29], s24, v11, v[4:5]
	s_mul_i32 s28, s25, s27
	v_add_u32_e32 v12, s28, v12
	flat_load_dword v11, v[11:12]
	v_mov_b32_e32 v12, s19
	ds_read_b32 v12, v12
	ds_read_b32 v13, v8
	s_waitcnt vmcnt(0) lgkmcnt(0)
	v_fma_f32 v11, -v11, v12, v13
	ds_write_b32 v8, v11
	s_branch .LBB8_154
.LBB8_161:                              ;   in Loop: Header=BB8_151 Depth=1
	s_add_i32 s41, s26, 0xfffffe00
	s_cmp_lt_i32 s26, 1
	s_cselect_b64 s[2:3], -1, 0
	s_and_b64 vcc, exec, s[2:3]
	s_waitcnt lgkmcnt(0)
	s_barrier
	s_cbranch_vccnz .LBB8_181
; %bb.162:                              ;   in Loop: Header=BB8_151 Depth=1
	s_mul_i32 s14, s25, s26
	s_mul_hi_u32 s15, s24, s26
	s_add_i32 s15, s15, s14
	s_mul_i32 s14, s24, s26
	s_add_u32 s42, s11, s14
	s_addc_u32 s43, s38, s15
	s_mov_b64 s[14:15], 0
	v_mov_b32_e32 v4, v9
	v_mov_b32_e32 v7, v0
	s_mov_b32 s44, s41
                                        ; implicit-def: $sgpr18_sgpr19
	s_branch .LBB8_165
.LBB8_163:                              ;   in Loop: Header=BB8_165 Depth=2
	v_mad_u64_u32 v[5:6], s[28:29], s6, v2, 0
	s_add_i32 s30, s44, 0xfffffe00
	s_cmp_lt_i32 s44, 1
	v_mad_u64_u32 v[12:13], s[28:29], s7, v2, v[6:7]
	v_mov_b32_e32 v2, s33
	s_cselect_b64 s[28:29], -1, 0
	v_mov_b32_e32 v6, v12
	v_lshlrev_b64 v[5:6], 2, v[5:6]
	s_andn2_b64 s[18:19], s[18:19], exec
	v_add_co_u32_e32 v5, vcc, s8, v5
	v_addc_co_u32_e32 v6, vcc, v2, v6, vcc
	flat_load_dword v2, v[5:6]
	s_and_b64 s[28:29], s[28:29], exec
	v_add_u32_e32 v4, 0xfffffe00, v4
	s_or_b64 s[18:19], s[18:19], s[28:29]
	s_mov_b32 s44, s30
	s_waitcnt vmcnt(0) lgkmcnt(0)
	v_sub_f32_e32 v2, v2, v11
	flat_store_dword v[5:6], v2
.LBB8_164:                              ;   in Loop: Header=BB8_165 Depth=2
	s_or_b64 exec, exec, s[26:27]
	s_and_b64 s[26:27], exec, s[18:19]
	s_or_b64 s[14:15], s[26:27], s[14:15]
	s_andn2_b64 exec, exec, s[14:15]
	s_cbranch_execz .LBB8_180
.LBB8_165:                              ;   Parent Loop BB8_151 Depth=1
                                        ; =>  This Loop Header: Depth=2
                                        ;       Child Loop BB8_168 Depth 3
	v_add_u32_e32 v2, s44, v0
	v_cmp_lt_i32_e32 vcc, -1, v2
	s_or_b64 s[18:19], s[18:19], exec
	s_and_saveexec_b64 s[26:27], vcc
	s_cbranch_execz .LBB8_164
; %bb.166:                              ;   in Loop: Header=BB8_165 Depth=2
	v_mov_b32_e32 v5, v3
	v_lshlrev_b64 v[5:6], 2, v[4:5]
	v_mov_b32_e32 v11, s43
	v_add_co_u32_e32 v5, vcc, s42, v5
	v_lshlrev_b64 v[13:14], 2, v[2:3]
	v_addc_co_u32_e32 v6, vcc, v11, v6, vcc
	v_mov_b32_e32 v11, s5
	v_add_co_u32_e32 v13, vcc, s4, v13
	v_add_u32_e32 v12, s10, v2
	v_addc_co_u32_e32 v14, vcc, v11, v14, vcc
	v_add_u32_e32 v15, 0xfffffdff, v7
	v_add_u32_e32 v7, 0xfffffe00, v7
	v_mov_b32_e32 v11, 0
	s_mov_b32 s45, 0
	s_movk_i32 s46, 0x1000
	s_mov_b32 s28, s37
	s_branch .LBB8_168
.LBB8_167:                              ;   in Loop: Header=BB8_168 Depth=3
	s_or_b64 exec, exec, s[30:31]
	s_add_i32 s45, s45, 2
	s_add_i32 s46, s46, 8
	s_add_i32 s28, s28, -2
	v_mov_b32_e32 v16, s40
	v_add_co_u32_e32 v5, vcc, s39, v5
	s_cmpk_eq_i32 s45, 0x200
	v_addc_co_u32_e32 v6, vcc, v6, v16, vcc
	s_cbranch_scc1 .LBB8_163
.LBB8_168:                              ;   Parent Loop BB8_151 Depth=1
                                        ;     Parent Loop BB8_165 Depth=2
                                        ; =>    This Inner Loop Header: Depth=3
	v_cmp_ne_u32_e32 vcc, s45, v7
	s_add_i32 s29, s9, s45
	s_or_b64 s[30:31], s[12:13], vcc
	s_and_saveexec_b64 s[34:35], s[30:31]
	s_xor_b64 s[30:31], exec, s[34:35]
	s_cbranch_execz .LBB8_172
; %bb.169:                              ;   in Loop: Header=BB8_168 Depth=3
	s_add_i32 s34, s29, 0xfffffe00
	v_cmp_le_i32_e32 vcc, s34, v12
	s_and_saveexec_b64 s[34:35], vcc
	s_cbranch_execz .LBB8_171
; %bb.170:                              ;   in Loop: Header=BB8_168 Depth=3
	flat_load_dword v16, v[5:6]
	v_mov_b32_e32 v17, s46
	ds_read_b32 v17, v17
	s_waitcnt vmcnt(0) lgkmcnt(0)
	v_fmac_f32_e32 v11, v16, v17
.LBB8_171:                              ;   in Loop: Header=BB8_168 Depth=3
	s_or_b64 exec, exec, s[34:35]
.LBB8_172:                              ;   in Loop: Header=BB8_168 Depth=3
	s_andn2_saveexec_b64 s[30:31], s[30:31]
	s_cbranch_execz .LBB8_174
; %bb.173:                              ;   in Loop: Header=BB8_168 Depth=3
	v_mov_b32_e32 v16, s46
	ds_read_b32 v16, v16
	s_waitcnt lgkmcnt(0)
	v_add_f32_e32 v11, v11, v16
.LBB8_174:                              ;   in Loop: Header=BB8_168 Depth=3
	s_or_b64 exec, exec, s[30:31]
	v_cmp_ne_u32_e32 vcc, s45, v15
	s_or_b64 s[30:31], s[12:13], vcc
	s_and_saveexec_b64 s[34:35], s[30:31]
	s_xor_b64 s[30:31], exec, s[34:35]
	s_cbranch_execz .LBB8_178
; %bb.175:                              ;   in Loop: Header=BB8_168 Depth=3
	s_add_i32 s47, s29, 0xfffffe01
	v_cmp_le_i32_e32 vcc, s47, v12
	s_and_saveexec_b64 s[34:35], vcc
	s_cbranch_execz .LBB8_177
; %bb.176:                              ;   in Loop: Header=BB8_168 Depth=3
	s_mul_i32 s48, s17, s47
	s_mul_hi_u32 s49, s16, s47
	s_add_i32 s49, s49, s48
	s_mul_i32 s48, s16, s47
	s_lshl_b64 s[48:49], s[48:49], 2
	s_ashr_i32 s29, s28, 31
	v_mov_b32_e32 v16, s49
	v_add_co_u32_e32 v17, vcc, s48, v13
	v_addc_co_u32_e32 v18, vcc, v14, v16, vcc
	s_lshl_b64 s[48:49], s[28:29], 2
	v_mov_b32_e32 v19, s49
	v_add_co_u32_e32 v16, vcc, s48, v17
	v_addc_co_u32_e32 v17, vcc, v18, v19, vcc
	flat_load_dword v16, v[16:17]
	v_mov_b32_e32 v17, s46
	ds_read_b32 v17, v17 offset:4
	s_waitcnt vmcnt(0) lgkmcnt(0)
	v_fmac_f32_e32 v11, v16, v17
.LBB8_177:                              ;   in Loop: Header=BB8_168 Depth=3
	s_or_b64 exec, exec, s[34:35]
.LBB8_178:                              ;   in Loop: Header=BB8_168 Depth=3
	s_andn2_saveexec_b64 s[30:31], s[30:31]
	s_cbranch_execz .LBB8_167
; %bb.179:                              ;   in Loop: Header=BB8_168 Depth=3
	v_mov_b32_e32 v16, s46
	ds_read_b32 v16, v16 offset:4
	s_waitcnt lgkmcnt(0)
	v_add_f32_e32 v11, v11, v16
	s_branch .LBB8_167
.LBB8_180:                              ;   in Loop: Header=BB8_151 Depth=1
	s_or_b64 exec, exec, s[14:15]
.LBB8_181:                              ;   in Loop: Header=BB8_151 Depth=1
	s_and_saveexec_b64 s[14:15], s[0:1]
	s_cbranch_execz .LBB8_150
; %bb.182:                              ;   in Loop: Header=BB8_151 Depth=1
	v_mad_u64_u32 v[4:5], s[0:1], s6, v10, 0
	v_mov_b32_e32 v2, v5
	v_mad_u64_u32 v[5:6], s[0:1], s7, v10, v[2:3]
	ds_read_b32 v2, v8
	v_mov_b32_e32 v6, s33
	v_lshlrev_b64 v[4:5], 2, v[4:5]
	v_add_co_u32_e32 v4, vcc, s8, v4
	v_addc_co_u32_e32 v5, vcc, v6, v5, vcc
	s_waitcnt lgkmcnt(0)
	flat_store_dword v[4:5], v2
	s_branch .LBB8_150
.LBB8_183:
	s_endpgm
	.section	.rodata,"a",@progbits
	.p2align	6, 0x0
	.amdhsa_kernel _ZL19rocblas_tbsv_kernelILb1ELi512EPKPKfPKPfEv18rocblas_operation_bbiiT1_lllT2_lll
		.amdhsa_group_segment_fixed_size 8192
		.amdhsa_private_segment_fixed_size 0
		.amdhsa_kernarg_size 80
		.amdhsa_user_sgpr_count 6
		.amdhsa_user_sgpr_private_segment_buffer 1
		.amdhsa_user_sgpr_dispatch_ptr 0
		.amdhsa_user_sgpr_queue_ptr 0
		.amdhsa_user_sgpr_kernarg_segment_ptr 1
		.amdhsa_user_sgpr_dispatch_id 0
		.amdhsa_user_sgpr_flat_scratch_init 0
		.amdhsa_user_sgpr_private_segment_size 0
		.amdhsa_uses_dynamic_stack 0
		.amdhsa_system_sgpr_private_segment_wavefront_offset 0
		.amdhsa_system_sgpr_workgroup_id_x 1
		.amdhsa_system_sgpr_workgroup_id_y 0
		.amdhsa_system_sgpr_workgroup_id_z 0
		.amdhsa_system_sgpr_workgroup_info 0
		.amdhsa_system_vgpr_workitem_id 0
		.amdhsa_next_free_vgpr 23
		.amdhsa_next_free_sgpr 68
		.amdhsa_reserve_vcc 1
		.amdhsa_reserve_flat_scratch 0
		.amdhsa_float_round_mode_32 0
		.amdhsa_float_round_mode_16_64 0
		.amdhsa_float_denorm_mode_32 3
		.amdhsa_float_denorm_mode_16_64 3
		.amdhsa_dx10_clamp 1
		.amdhsa_ieee_mode 1
		.amdhsa_fp16_overflow 0
		.amdhsa_exception_fp_ieee_invalid_op 0
		.amdhsa_exception_fp_denorm_src 0
		.amdhsa_exception_fp_ieee_div_zero 0
		.amdhsa_exception_fp_ieee_overflow 0
		.amdhsa_exception_fp_ieee_underflow 0
		.amdhsa_exception_fp_ieee_inexact 0
		.amdhsa_exception_int_div_zero 0
	.end_amdhsa_kernel
	.section	.text._ZL19rocblas_tbsv_kernelILb1ELi512EPKPKfPKPfEv18rocblas_operation_bbiiT1_lllT2_lll,"axG",@progbits,_ZL19rocblas_tbsv_kernelILb1ELi512EPKPKfPKPfEv18rocblas_operation_bbiiT1_lllT2_lll,comdat
.Lfunc_end8:
	.size	_ZL19rocblas_tbsv_kernelILb1ELi512EPKPKfPKPfEv18rocblas_operation_bbiiT1_lllT2_lll, .Lfunc_end8-_ZL19rocblas_tbsv_kernelILb1ELi512EPKPKfPKPfEv18rocblas_operation_bbiiT1_lllT2_lll
                                        ; -- End function
	.set _ZL19rocblas_tbsv_kernelILb1ELi512EPKPKfPKPfEv18rocblas_operation_bbiiT1_lllT2_lll.num_vgpr, 23
	.set _ZL19rocblas_tbsv_kernelILb1ELi512EPKPKfPKPfEv18rocblas_operation_bbiiT1_lllT2_lll.num_agpr, 0
	.set _ZL19rocblas_tbsv_kernelILb1ELi512EPKPKfPKPfEv18rocblas_operation_bbiiT1_lllT2_lll.numbered_sgpr, 68
	.set _ZL19rocblas_tbsv_kernelILb1ELi512EPKPKfPKPfEv18rocblas_operation_bbiiT1_lllT2_lll.num_named_barrier, 0
	.set _ZL19rocblas_tbsv_kernelILb1ELi512EPKPKfPKPfEv18rocblas_operation_bbiiT1_lllT2_lll.private_seg_size, 0
	.set _ZL19rocblas_tbsv_kernelILb1ELi512EPKPKfPKPfEv18rocblas_operation_bbiiT1_lllT2_lll.uses_vcc, 1
	.set _ZL19rocblas_tbsv_kernelILb1ELi512EPKPKfPKPfEv18rocblas_operation_bbiiT1_lllT2_lll.uses_flat_scratch, 0
	.set _ZL19rocblas_tbsv_kernelILb1ELi512EPKPKfPKPfEv18rocblas_operation_bbiiT1_lllT2_lll.has_dyn_sized_stack, 0
	.set _ZL19rocblas_tbsv_kernelILb1ELi512EPKPKfPKPfEv18rocblas_operation_bbiiT1_lllT2_lll.has_recursion, 0
	.set _ZL19rocblas_tbsv_kernelILb1ELi512EPKPKfPKPfEv18rocblas_operation_bbiiT1_lllT2_lll.has_indirect_call, 0
	.section	.AMDGPU.csdata,"",@progbits
; Kernel info:
; codeLenInByte = 6464
; TotalNumSgprs: 72
; NumVgprs: 23
; ScratchSize: 0
; MemoryBound: 0
; FloatMode: 240
; IeeeMode: 1
; LDSByteSize: 8192 bytes/workgroup (compile time only)
; SGPRBlocks: 8
; VGPRBlocks: 5
; NumSGPRsForWavesPerEU: 72
; NumVGPRsForWavesPerEU: 23
; Occupancy: 10
; WaveLimiterHint : 1
; COMPUTE_PGM_RSRC2:SCRATCH_EN: 0
; COMPUTE_PGM_RSRC2:USER_SGPR: 6
; COMPUTE_PGM_RSRC2:TRAP_HANDLER: 0
; COMPUTE_PGM_RSRC2:TGID_X_EN: 1
; COMPUTE_PGM_RSRC2:TGID_Y_EN: 0
; COMPUTE_PGM_RSRC2:TGID_Z_EN: 0
; COMPUTE_PGM_RSRC2:TIDIG_COMP_CNT: 0
	.section	.text._ZL19rocblas_tbsv_kernelILb0ELi512EPKPKfPKPfEv18rocblas_operation_bbiiT1_lllT2_lll,"axG",@progbits,_ZL19rocblas_tbsv_kernelILb0ELi512EPKPKfPKPfEv18rocblas_operation_bbiiT1_lllT2_lll,comdat
	.globl	_ZL19rocblas_tbsv_kernelILb0ELi512EPKPKfPKPfEv18rocblas_operation_bbiiT1_lllT2_lll ; -- Begin function _ZL19rocblas_tbsv_kernelILb0ELi512EPKPKfPKPfEv18rocblas_operation_bbiiT1_lllT2_lll
	.p2align	8
	.type	_ZL19rocblas_tbsv_kernelILb0ELi512EPKPKfPKPfEv18rocblas_operation_bbiiT1_lllT2_lll,@function
_ZL19rocblas_tbsv_kernelILb0ELi512EPKPKfPKPfEv18rocblas_operation_bbiiT1_lllT2_lll: ; @_ZL19rocblas_tbsv_kernelILb0ELi512EPKPKfPKPfEv18rocblas_operation_bbiiT1_lllT2_lll
; %bb.0:
	s_load_dwordx2 s[26:27], s[4:5], 0x0
	s_load_dwordx4 s[8:11], s[4:5], 0x4
	s_load_dwordx4 s[12:15], s[4:5], 0x10
	s_load_dwordx2 s[16:17], s[4:5], 0x20
	s_mov_b32 s7, 0
	s_waitcnt lgkmcnt(0)
	s_bitcmp1_b32 s27, 0
	s_cselect_b64 s[0:1], -1, 0
	s_xor_b64 s[24:25], s[0:1], -1
	s_bitcmp1_b32 s8, 8
	s_cselect_b64 s[18:19], -1, 0
	s_lshl_b64 s[22:23], s[6:7], 3
	s_add_u32 s20, s12, s22
	s_addc_u32 s21, s13, s23
	s_load_dwordx2 s[12:13], s[20:21], 0x0
	s_load_dwordx4 s[0:3], s[4:5], 0x30
	s_load_dwordx2 s[6:7], s[4:5], 0x40
	s_lshl_b64 s[20:21], s[14:15], 2
	s_waitcnt lgkmcnt(0)
	s_add_u32 s4, s12, s20
	s_addc_u32 s5, s13, s21
	s_add_u32 s0, s0, s22
	s_addc_u32 s1, s1, s23
	s_load_dwordx2 s[0:1], s[0:1], 0x0
	s_lshl_b64 s[2:3], s[2:3], 2
	s_waitcnt lgkmcnt(0)
	s_add_u32 s8, s0, s2
	s_addc_u32 s33, s1, s3
	s_cmp_gt_i32 s9, 0
	s_cselect_b64 s[22:23], -1, 0
	s_cmpk_lg_i32 s26, 0x6f
	s_mov_b64 s[0:1], -1
	s_cbranch_scc0 .LBB9_109
; %bb.1:
	s_and_b64 vcc, exec, s[24:25]
	s_cbranch_vccz .LBB9_55
; %bb.2:
	s_andn2_b64 vcc, exec, s[22:23]
	s_cbranch_vccnz .LBB9_54
; %bb.3:
	s_ashr_i32 s1, s9, 31
	s_mov_b32 s0, s9
	s_add_i32 s36, s9, 0xfffffe00
	s_lshl_b64 s[0:1], s[0:1], 2
	s_add_u32 s0, s20, s0
	s_addc_u32 s1, s21, s1
	s_add_u32 s0, s12, s0
	v_mov_b32_e32 v1, 0x1800
	s_addc_u32 s1, s13, s1
	v_lshl_or_b32 v7, v0, 2, v1
	s_add_u32 s26, s0, 0xfffff800
	v_add_u32_e32 v1, s9, v0
	v_sub_u32_e32 v8, 0, v0
	v_add_u32_e32 v9, 0xfffffe01, v0
	s_addc_u32 s27, s1, -1
	v_add_u32_e32 v10, 0xfffffc00, v1
	s_lshl_b64 s[28:29], s[16:17], 2
	v_mov_b32_e32 v11, s5
	s_xor_b64 s[30:31], s[18:19], -1
	v_mov_b32_e32 v2, 0
	s_mov_b32 s11, s9
	s_branch .LBB9_5
.LBB9_4:                                ;   in Loop: Header=BB9_5 Depth=1
	s_or_b64 exec, exec, s[34:35]
	s_addk_i32 s11, 0xfe00
	s_add_u32 s26, s26, 0xfffff800
	s_addc_u32 s27, s27, -1
	v_add_u32_e32 v10, 0xfffffe00, v10
	s_andn2_b64 vcc, exec, s[2:3]
	s_mov_b32 s36, s44
	s_waitcnt vmcnt(0) lgkmcnt(0)
	s_barrier
	s_cbranch_vccz .LBB9_54
.LBB9_5:                                ; =>This Loop Header: Depth=1
                                        ;     Child Loop BB9_10 Depth 2
                                        ;     Child Loop BB9_24 Depth 2
                                        ;       Child Loop BB9_27 Depth 3
	v_add_u32_e32 v12, s36, v0
	v_cmp_gt_i32_e32 vcc, 0, v12
	v_cmp_lt_i32_e64 s[0:1], -1, v12
	s_and_saveexec_b64 s[34:35], s[0:1]
	s_cbranch_execz .LBB9_7
; %bb.6:                                ;   in Loop: Header=BB9_5 Depth=1
	v_mad_u64_u32 v[3:4], s[2:3], s6, v12, 0
	v_mov_b32_e32 v1, v4
	v_mad_u64_u32 v[4:5], s[2:3], s7, v12, v[1:2]
	v_mov_b32_e32 v1, s33
	v_lshlrev_b64 v[3:4], 2, v[3:4]
	v_add_co_u32_e64 v3, s[2:3], s8, v3
	v_addc_co_u32_e64 v4, s[2:3], v1, v4, s[2:3]
	flat_load_dword v1, v[3:4]
	s_waitcnt vmcnt(0) lgkmcnt(0)
	ds_write_b32 v7, v1
.LBB9_7:                                ;   in Loop: Header=BB9_5 Depth=1
	s_or_b64 exec, exec, s[34:35]
	v_ashrrev_i32_e32 v1, 31, v12
	v_mul_lo_u32 v6, s17, v12
	v_mul_lo_u32 v1, s16, v1
	v_mad_u64_u32 v[4:5], s[2:3], s16, v12, 0
	v_add_u32_e32 v3, s10, v12
	s_movk_i32 s37, 0x1ff
	v_add3_u32 v5, v5, v1, v6
	v_lshlrev_b64 v[4:5], 2, v[4:5]
	s_mov_b32 s38, 0
	v_add_co_u32_e64 v4, s[2:3], s4, v4
	v_addc_co_u32_e64 v5, s[2:3], v11, v5, s[2:3]
	s_movk_i32 s39, 0x1ff8
	s_xor_b64 s[34:35], vcc, -1
	s_waitcnt lgkmcnt(0)
	s_barrier
	s_branch .LBB9_10
.LBB9_8:                                ;   in Loop: Header=BB9_10 Depth=2
	s_or_b64 exec, exec, s[2:3]
	s_add_i32 s37, s37, -2
	s_add_i32 s38, s38, -2
	;; [unrolled: 1-line block ×3, first 2 shown]
	s_cmp_eq_u32 s40, 0
	s_cselect_b64 s[2:3], -1, 0
.LBB9_9:                                ;   in Loop: Header=BB9_10 Depth=2
	s_and_b64 vcc, exec, s[2:3]
	s_cbranch_vccnz .LBB9_20
.LBB9_10:                               ;   Parent Loop BB9_5 Depth=1
                                        ; =>  This Inner Loop Header: Depth=2
	s_add_i32 s40, s11, s38
	s_add_i32 s41, s40, -1
	s_cmp_lt_i32 s41, 0
	s_mov_b64 s[2:3], -1
	s_cbranch_scc1 .LBB9_9
; %bb.11:                               ;   in Loop: Header=BB9_10 Depth=2
	v_cmp_eq_u32_e32 vcc, s38, v9
	s_and_b64 s[42:43], s[30:31], vcc
	s_and_saveexec_b64 s[2:3], s[42:43]
	s_cbranch_execz .LBB9_13
; %bb.12:                               ;   in Loop: Header=BB9_10 Depth=2
	s_mul_i32 s42, s17, s41
	s_mul_hi_u32 s43, s16, s41
	s_add_i32 s43, s43, s42
	s_mul_i32 s42, s16, s41
	s_lshl_b64 s[42:43], s[42:43], 2
	s_add_u32 s42, s4, s42
	s_addc_u32 s43, s5, s43
	v_mov_b32_e32 v13, s42
	v_mov_b32_e32 v14, s43
	flat_load_dword v1, v[13:14]
	ds_read_b32 v6, v7
	s_waitcnt vmcnt(0) lgkmcnt(0)
	v_div_scale_f32 v13, s[42:43], v1, v1, v6
	v_div_scale_f32 v14, vcc, v6, v1, v6
	v_rcp_f32_e32 v15, v13
	v_fma_f32 v16, -v13, v15, 1.0
	v_fmac_f32_e32 v15, v16, v15
	v_mul_f32_e32 v16, v14, v15
	v_fma_f32 v17, -v13, v16, v14
	v_fmac_f32_e32 v16, v17, v15
	v_fma_f32 v13, -v13, v16, v14
	v_div_fmas_f32 v13, v13, v15, v16
	v_div_fixup_f32 v1, v13, v1, v6
	ds_write_b32 v7, v1
.LBB9_13:                               ;   in Loop: Header=BB9_10 Depth=2
	s_or_b64 exec, exec, s[2:3]
	v_cmp_gt_u32_e32 vcc, s37, v0
	v_cmp_le_i32_e64 s[2:3], s41, v3
	s_and_b64 s[42:43], s[34:35], vcc
	s_and_b64 s[42:43], s[42:43], s[2:3]
	s_waitcnt lgkmcnt(0)
	s_barrier
	s_and_saveexec_b64 s[2:3], s[42:43]
	s_cbranch_execz .LBB9_15
; %bb.14:                               ;   in Loop: Header=BB9_10 Depth=2
	v_add_u32_e32 v1, s38, v8
	v_add_u32_e32 v1, 0x1ff, v1
	v_lshlrev_b64 v[13:14], 2, v[1:2]
	v_mov_b32_e32 v6, s39
	v_add_co_u32_e32 v13, vcc, v4, v13
	v_addc_co_u32_e32 v14, vcc, v5, v14, vcc
	flat_load_dword v1, v[13:14]
	ds_read_b32 v6, v6 offset:4
	ds_read_b32 v13, v7
	s_waitcnt vmcnt(0) lgkmcnt(0)
	v_fma_f32 v1, -v1, v6, v13
	ds_write_b32 v7, v1
.LBB9_15:                               ;   in Loop: Header=BB9_10 Depth=2
	s_or_b64 exec, exec, s[2:3]
	s_add_i32 s41, s40, -2
	s_cmp_lt_i32 s41, 0
	s_mov_b64 s[2:3], -1
	s_cbranch_scc1 .LBB9_9
; %bb.16:                               ;   in Loop: Header=BB9_10 Depth=2
	s_add_i32 s40, s37, -1
	v_cmp_eq_u32_e32 vcc, s40, v0
	s_and_b64 s[42:43], s[30:31], vcc
	s_and_saveexec_b64 s[2:3], s[42:43]
	s_cbranch_execz .LBB9_18
; %bb.17:                               ;   in Loop: Header=BB9_10 Depth=2
	s_mul_i32 s42, s17, s41
	s_mul_hi_u32 s43, s16, s41
	s_add_i32 s43, s43, s42
	s_mul_i32 s42, s16, s41
	s_lshl_b64 s[42:43], s[42:43], 2
	s_add_u32 s42, s4, s42
	s_addc_u32 s43, s5, s43
	v_mov_b32_e32 v13, s42
	v_mov_b32_e32 v14, s43
	flat_load_dword v1, v[13:14]
	ds_read_b32 v6, v7
	s_waitcnt vmcnt(0) lgkmcnt(0)
	v_div_scale_f32 v13, s[42:43], v1, v1, v6
	v_div_scale_f32 v14, vcc, v6, v1, v6
	v_rcp_f32_e32 v15, v13
	v_fma_f32 v16, -v13, v15, 1.0
	v_fmac_f32_e32 v15, v16, v15
	v_mul_f32_e32 v16, v14, v15
	v_fma_f32 v17, -v13, v16, v14
	v_fmac_f32_e32 v16, v17, v15
	v_fma_f32 v13, -v13, v16, v14
	v_div_fmas_f32 v13, v13, v15, v16
	v_div_fixup_f32 v1, v13, v1, v6
	ds_write_b32 v7, v1
.LBB9_18:                               ;   in Loop: Header=BB9_10 Depth=2
	s_or_b64 exec, exec, s[2:3]
	v_cmp_gt_u32_e32 vcc, s40, v0
	v_cmp_le_i32_e64 s[2:3], s41, v3
	s_and_b64 s[42:43], s[34:35], vcc
	s_and_b64 s[42:43], s[42:43], s[2:3]
	s_waitcnt lgkmcnt(0)
	s_barrier
	s_and_saveexec_b64 s[2:3], s[42:43]
	s_cbranch_execz .LBB9_8
; %bb.19:                               ;   in Loop: Header=BB9_10 Depth=2
	v_add_u32_e32 v1, s38, v8
	v_add_u32_e32 v1, 0x1fe, v1
	v_lshlrev_b64 v[13:14], 2, v[1:2]
	v_mov_b32_e32 v6, s39
	v_add_co_u32_e32 v13, vcc, v4, v13
	v_addc_co_u32_e32 v14, vcc, v5, v14, vcc
	flat_load_dword v1, v[13:14]
	ds_read_b32 v6, v6
	ds_read_b32 v13, v7
	s_waitcnt vmcnt(0) lgkmcnt(0)
	v_fma_f32 v1, -v1, v6, v13
	ds_write_b32 v7, v1
	s_branch .LBB9_8
.LBB9_20:                               ;   in Loop: Header=BB9_5 Depth=1
	s_add_i32 s44, s36, 0xfffffe00
	s_cmp_lt_i32 s36, 1
	s_cselect_b64 s[2:3], -1, 0
	s_and_b64 vcc, exec, s[2:3]
	s_waitcnt lgkmcnt(0)
	s_barrier
	s_cbranch_vccnz .LBB9_52
; %bb.21:                               ;   in Loop: Header=BB9_5 Depth=1
	v_mad_i64_i32 v[3:4], s[34:35], v10, -4, s[26:27]
	s_mov_b64 s[34:35], 0
	v_mov_b32_e32 v1, v10
	v_mov_b32_e32 v13, v0
	s_mov_b32 s45, s44
                                        ; implicit-def: $sgpr36_sgpr37
	s_branch .LBB9_24
.LBB9_22:                               ;   in Loop: Header=BB9_24 Depth=2
	v_mad_u64_u32 v[5:6], s[40:41], s6, v15, 0
	s_add_i32 s42, s45, 0xfffffe00
	s_cmp_lt_i32 s45, 1
	v_mad_u64_u32 v[15:16], s[40:41], s7, v15, v[6:7]
	v_mov_b32_e32 v16, s33
	s_cselect_b64 s[40:41], -1, 0
	v_mov_b32_e32 v6, v15
	v_lshlrev_b64 v[5:6], 2, v[5:6]
	s_andn2_b64 s[36:37], s[36:37], exec
	v_add_co_u32_e32 v5, vcc, s8, v5
	v_addc_co_u32_e32 v6, vcc, v16, v6, vcc
	flat_load_dword v15, v[5:6]
	v_add_co_u32_e32 v3, vcc, 0x800, v3
	s_and_b64 s[40:41], s[40:41], exec
	v_add_u32_e32 v1, 0xfffffe00, v1
	v_addc_co_u32_e32 v4, vcc, 0, v4, vcc
	s_or_b64 s[36:37], s[36:37], s[40:41]
	s_mov_b32 s45, s42
	s_waitcnt vmcnt(0) lgkmcnt(0)
	v_sub_f32_e32 v14, v15, v14
	flat_store_dword v[5:6], v14
.LBB9_23:                               ;   in Loop: Header=BB9_24 Depth=2
	s_or_b64 exec, exec, s[38:39]
	s_and_b64 s[38:39], exec, s[36:37]
	s_or_b64 s[34:35], s[38:39], s[34:35]
	s_andn2_b64 exec, exec, s[34:35]
	s_cbranch_execz .LBB9_51
.LBB9_24:                               ;   Parent Loop BB9_5 Depth=1
                                        ; =>  This Loop Header: Depth=2
                                        ;       Child Loop BB9_27 Depth 3
	v_add_u32_e32 v15, s45, v0
	v_cmp_lt_i32_e32 vcc, -1, v15
	s_or_b64 s[36:37], s[36:37], exec
	s_and_saveexec_b64 s[38:39], vcc
	s_cbranch_execz .LBB9_23
; %bb.25:                               ;   in Loop: Header=BB9_24 Depth=2
	v_mad_u64_u32 v[5:6], s[40:41], s28, v1, v[3:4]
	v_add_u32_e32 v16, s10, v15
	v_add_u32_e32 v17, 0xfffffdfd, v13
	v_mad_u64_u32 v[20:21], s[40:41], s29, v1, v[6:7]
	v_add_u32_e32 v18, 0xfffffdfe, v13
	v_add_u32_e32 v19, 0xfffffdff, v13
	v_mov_b32_e32 v6, v20
	v_add_u32_e32 v13, 0xfffffe00, v13
	v_mov_b32_e32 v14, 0
	s_mov_b32 s46, 0
	s_movk_i32 s47, 0x1800
	s_branch .LBB9_27
.LBB9_26:                               ;   in Loop: Header=BB9_27 Depth=3
	s_or_b64 exec, exec, s[40:41]
	s_add_i32 s46, s46, 4
	s_add_i32 s47, s47, 16
	v_add_co_u32_e32 v5, vcc, 16, v5
	s_cmpk_eq_i32 s46, 0x200
	v_addc_co_u32_e32 v6, vcc, 0, v6, vcc
	s_cbranch_scc1 .LBB9_22
.LBB9_27:                               ;   Parent Loop BB9_5 Depth=1
                                        ;     Parent Loop BB9_24 Depth=2
                                        ; =>    This Inner Loop Header: Depth=3
	v_cmp_ne_u32_e32 vcc, s46, v13
	s_add_i32 s48, s11, s46
	s_or_b64 s[40:41], s[30:31], vcc
	s_and_saveexec_b64 s[42:43], s[40:41]
	s_xor_b64 s[40:41], exec, s[42:43]
	s_cbranch_execz .LBB9_31
; %bb.28:                               ;   in Loop: Header=BB9_27 Depth=3
	s_add_i32 s42, s48, 0xfffffe00
	v_cmp_le_i32_e32 vcc, s42, v16
	s_and_saveexec_b64 s[42:43], vcc
	s_cbranch_execz .LBB9_30
; %bb.29:                               ;   in Loop: Header=BB9_27 Depth=3
	flat_load_dword v20, v[5:6]
	v_mov_b32_e32 v21, s47
	ds_read_b32 v21, v21
	s_waitcnt vmcnt(0) lgkmcnt(0)
	v_fmac_f32_e32 v14, v20, v21
.LBB9_30:                               ;   in Loop: Header=BB9_27 Depth=3
	s_or_b64 exec, exec, s[42:43]
.LBB9_31:                               ;   in Loop: Header=BB9_27 Depth=3
	s_andn2_saveexec_b64 s[40:41], s[40:41]
	s_cbranch_execz .LBB9_33
; %bb.32:                               ;   in Loop: Header=BB9_27 Depth=3
	v_mov_b32_e32 v20, s47
	ds_read_b32 v20, v20
	s_waitcnt lgkmcnt(0)
	v_add_f32_e32 v14, v14, v20
.LBB9_33:                               ;   in Loop: Header=BB9_27 Depth=3
	s_or_b64 exec, exec, s[40:41]
	v_cmp_ne_u32_e32 vcc, s46, v19
	s_or_b64 s[40:41], s[30:31], vcc
	s_and_saveexec_b64 s[42:43], s[40:41]
	s_xor_b64 s[40:41], exec, s[42:43]
	s_cbranch_execz .LBB9_37
; %bb.34:                               ;   in Loop: Header=BB9_27 Depth=3
	s_add_i32 s42, s48, 0xfffffe01
	v_cmp_le_i32_e32 vcc, s42, v16
	s_and_saveexec_b64 s[42:43], vcc
	s_cbranch_execz .LBB9_36
; %bb.35:                               ;   in Loop: Header=BB9_27 Depth=3
	flat_load_dword v20, v[5:6] offset:4
	v_mov_b32_e32 v21, s47
	ds_read_b32 v21, v21 offset:4
	s_waitcnt vmcnt(0) lgkmcnt(0)
	v_fmac_f32_e32 v14, v20, v21
.LBB9_36:                               ;   in Loop: Header=BB9_27 Depth=3
	s_or_b64 exec, exec, s[42:43]
.LBB9_37:                               ;   in Loop: Header=BB9_27 Depth=3
	s_andn2_saveexec_b64 s[40:41], s[40:41]
	s_cbranch_execz .LBB9_39
; %bb.38:                               ;   in Loop: Header=BB9_27 Depth=3
	v_mov_b32_e32 v20, s47
	ds_read_b32 v20, v20 offset:4
	s_waitcnt lgkmcnt(0)
	v_add_f32_e32 v14, v14, v20
.LBB9_39:                               ;   in Loop: Header=BB9_27 Depth=3
	s_or_b64 exec, exec, s[40:41]
	v_cmp_ne_u32_e32 vcc, s46, v18
	s_or_b64 s[40:41], s[30:31], vcc
	s_and_saveexec_b64 s[42:43], s[40:41]
	s_xor_b64 s[40:41], exec, s[42:43]
	s_cbranch_execz .LBB9_43
; %bb.40:                               ;   in Loop: Header=BB9_27 Depth=3
	s_add_i32 s42, s48, 0xfffffe02
	v_cmp_le_i32_e32 vcc, s42, v16
	s_and_saveexec_b64 s[42:43], vcc
	s_cbranch_execz .LBB9_42
; %bb.41:                               ;   in Loop: Header=BB9_27 Depth=3
	flat_load_dword v20, v[5:6] offset:8
	v_mov_b32_e32 v21, s47
	ds_read_b32 v21, v21 offset:8
	s_waitcnt vmcnt(0) lgkmcnt(0)
	v_fmac_f32_e32 v14, v20, v21
.LBB9_42:                               ;   in Loop: Header=BB9_27 Depth=3
	s_or_b64 exec, exec, s[42:43]
.LBB9_43:                               ;   in Loop: Header=BB9_27 Depth=3
	s_andn2_saveexec_b64 s[40:41], s[40:41]
	s_cbranch_execz .LBB9_45
; %bb.44:                               ;   in Loop: Header=BB9_27 Depth=3
	v_mov_b32_e32 v20, s47
	ds_read_b32 v20, v20 offset:8
	s_waitcnt lgkmcnt(0)
	v_add_f32_e32 v14, v14, v20
.LBB9_45:                               ;   in Loop: Header=BB9_27 Depth=3
	s_or_b64 exec, exec, s[40:41]
	v_cmp_ne_u32_e32 vcc, s46, v17
	s_or_b64 s[40:41], s[30:31], vcc
	s_and_saveexec_b64 s[42:43], s[40:41]
	s_xor_b64 s[40:41], exec, s[42:43]
	s_cbranch_execz .LBB9_49
; %bb.46:                               ;   in Loop: Header=BB9_27 Depth=3
	s_addk_i32 s48, 0xfe03
	v_cmp_le_i32_e32 vcc, s48, v16
	s_and_saveexec_b64 s[42:43], vcc
	s_cbranch_execz .LBB9_48
; %bb.47:                               ;   in Loop: Header=BB9_27 Depth=3
	flat_load_dword v20, v[5:6] offset:12
	v_mov_b32_e32 v21, s47
	ds_read_b32 v21, v21 offset:12
	s_waitcnt vmcnt(0) lgkmcnt(0)
	v_fmac_f32_e32 v14, v20, v21
.LBB9_48:                               ;   in Loop: Header=BB9_27 Depth=3
	s_or_b64 exec, exec, s[42:43]
.LBB9_49:                               ;   in Loop: Header=BB9_27 Depth=3
	s_andn2_saveexec_b64 s[40:41], s[40:41]
	s_cbranch_execz .LBB9_26
; %bb.50:                               ;   in Loop: Header=BB9_27 Depth=3
	v_mov_b32_e32 v20, s47
	ds_read_b32 v20, v20 offset:12
	s_waitcnt lgkmcnt(0)
	v_add_f32_e32 v14, v14, v20
	s_branch .LBB9_26
.LBB9_51:                               ;   in Loop: Header=BB9_5 Depth=1
	s_or_b64 exec, exec, s[34:35]
.LBB9_52:                               ;   in Loop: Header=BB9_5 Depth=1
	s_and_saveexec_b64 s[34:35], s[0:1]
	s_cbranch_execz .LBB9_4
; %bb.53:                               ;   in Loop: Header=BB9_5 Depth=1
	v_mad_u64_u32 v[3:4], s[0:1], s6, v12, 0
	v_mov_b32_e32 v1, v4
	v_mad_u64_u32 v[4:5], s[0:1], s7, v12, v[1:2]
	ds_read_b32 v1, v7
	v_mov_b32_e32 v5, s33
	v_lshlrev_b64 v[3:4], 2, v[3:4]
	v_add_co_u32_e32 v3, vcc, s8, v3
	v_addc_co_u32_e32 v4, vcc, v5, v4, vcc
	s_waitcnt lgkmcnt(0)
	flat_store_dword v[3:4], v1
	s_branch .LBB9_4
.LBB9_54:
	s_mov_b64 s[0:1], 0
.LBB9_55:
	s_andn2_b64 vcc, exec, s[0:1]
	s_cbranch_vccnz .LBB9_108
; %bb.56:
	s_andn2_b64 vcc, exec, s[22:23]
	s_cbranch_vccnz .LBB9_108
; %bb.57:
	s_ashr_i32 s11, s10, 31
	s_lshl_b64 s[0:1], s[16:17], 2
	s_lshl_b64 s[2:3], s[10:11], 2
	s_add_u32 s11, s0, s2
	s_addc_u32 s27, s1, s3
	s_add_u32 s26, s12, s11
	s_addc_u32 s27, s13, s27
	s_lshl_b64 s[28:29], s[16:17], 11
	s_lshl_b64 s[30:31], s[16:17], 3
	s_add_u32 s11, s28, 0x800
	s_addc_u32 s38, s29, 0
	s_add_u32 s0, s0, -4
	s_addc_u32 s36, s1, -1
	s_add_u32 s34, s12, s2
	s_addc_u32 s35, s13, s3
	v_mov_b32_e32 v1, s34
	v_mov_b32_e32 v2, s35
	v_or_b32_e32 v9, 0x200, v0
	v_mad_u64_u32 v[1:2], s[0:1], s0, v0, v[1:2]
	v_mad_u64_u32 v[3:4], s[0:1], s16, v9, 0
	s_mov_b32 s50, 0
	v_mov_b32_e32 v11, s29
	v_mad_u64_u32 v[5:6], s[0:1], s36, v0, v[2:3]
	v_mov_b32_e32 v2, v4
	v_mad_u64_u32 v[6:7], s[0:1], s17, v9, v[2:3]
	s_add_u32 s0, s34, s20
	v_mov_b32_e32 v2, 0x800
	v_mov_b32_e32 v4, v6
	v_lshlrev_b64 v[3:4], 2, v[3:4]
	s_addc_u32 s1, s35, s21
	v_lshl_or_b32 v10, v0, 2, v2
	v_mov_b32_e32 v2, v5
	v_mov_b32_e32 v5, s1
	v_add_co_u32_e32 v3, vcc, s0, v3
	s_add_u32 s48, s28, 0xfffff800
	v_addc_co_u32_e32 v4, vcc, v5, v4, vcc
	s_addc_u32 s49, s29, -1
	s_xor_b64 s[36:37], s[18:19], -1
	v_mov_b32_e32 v12, s38
	s_branch .LBB9_59
.LBB9_58:                               ;   in Loop: Header=BB9_59 Depth=1
	s_or_b64 exec, exec, s[38:39]
	v_add_co_u32_e32 v1, vcc, s28, v1
	s_add_u32 s26, s26, s28
	v_addc_co_u32_e32 v2, vcc, v2, v11, vcc
	s_addc_u32 s27, s27, s29
	v_add_co_u32_e32 v3, vcc, s11, v3
	s_add_u32 s34, s34, s28
	v_addc_co_u32_e32 v4, vcc, v4, v12, vcc
	s_addc_u32 s35, s35, s29
	v_add_u32_e32 v9, 0x200, v9
	s_and_b64 vcc, exec, s[2:3]
	s_mov_b32 s50, s51
	s_waitcnt vmcnt(0) lgkmcnt(0)
	s_barrier
	s_cbranch_vccnz .LBB9_108
.LBB9_59:                               ; =>This Loop Header: Depth=1
                                        ;     Child Loop BB9_63 Depth 2
                                        ;     Child Loop BB9_78 Depth 2
                                        ;       Child Loop BB9_81 Depth 3
	v_add_u32_e32 v13, s50, v0
	v_cmp_le_i32_e32 vcc, s9, v13
	v_cmp_gt_i32_e64 s[0:1], s9, v13
	s_and_saveexec_b64 s[38:39], s[0:1]
	s_cbranch_execz .LBB9_61
; %bb.60:                               ;   in Loop: Header=BB9_59 Depth=1
	v_mad_u64_u32 v[5:6], s[2:3], s6, v13, 0
	v_mad_u64_u32 v[6:7], s[2:3], s7, v13, v[6:7]
	v_mov_b32_e32 v7, s33
	v_lshlrev_b64 v[5:6], 2, v[5:6]
	v_add_co_u32_e64 v5, s[2:3], s8, v5
	v_addc_co_u32_e64 v6, s[2:3], v7, v6, s[2:3]
	flat_load_dword v5, v[5:6]
	s_waitcnt vmcnt(0) lgkmcnt(0)
	ds_write_b32 v10, v5
.LBB9_61:                               ;   in Loop: Header=BB9_59 Depth=1
	s_or_b64 exec, exec, s[38:39]
	v_mov_b32_e32 v6, v2
	v_subrev_u32_e32 v7, s10, v13
	s_mov_b32 s45, 0
	s_movk_i32 s44, 0x800
	s_xor_b64 s[38:39], vcc, -1
	s_mov_b64 s[42:43], s[34:35]
	v_mov_b32_e32 v5, v1
	s_mov_b64 s[40:41], s[26:27]
	s_waitcnt lgkmcnt(0)
	s_barrier
	s_branch .LBB9_63
.LBB9_62:                               ;   in Loop: Header=BB9_63 Depth=2
                                        ; implicit-def: $sgpr45
                                        ; implicit-def: $sgpr44
                                        ; implicit-def: $sgpr40_sgpr41
                                        ; implicit-def: $vgpr5_vgpr6
                                        ; implicit-def: $sgpr42_sgpr43
	s_cbranch_execnz .LBB9_74
.LBB9_63:                               ;   Parent Loop BB9_59 Depth=1
                                        ; =>  This Inner Loop Header: Depth=2
	s_add_i32 s46, s50, s45
	s_cmp_ge_i32 s46, s9
	s_cbranch_scc1 .LBB9_62
; %bb.64:                               ;   in Loop: Header=BB9_63 Depth=2
	v_cmp_eq_u32_e32 vcc, s45, v0
	s_and_b64 s[52:53], s[36:37], vcc
	s_and_saveexec_b64 s[2:3], s[52:53]
	s_cbranch_execz .LBB9_66
; %bb.65:                               ;   in Loop: Header=BB9_63 Depth=2
	s_add_u32 s52, s42, s20
	s_addc_u32 s53, s43, s21
	v_mov_b32_e32 v14, s52
	v_mov_b32_e32 v15, s53
	flat_load_dword v8, v[14:15]
	ds_read_b32 v14, v10
	s_waitcnt vmcnt(0) lgkmcnt(0)
	v_div_scale_f32 v15, s[52:53], v8, v8, v14
	v_div_scale_f32 v16, vcc, v14, v8, v14
	v_rcp_f32_e32 v17, v15
	v_fma_f32 v18, -v15, v17, 1.0
	v_fmac_f32_e32 v17, v18, v17
	v_mul_f32_e32 v18, v16, v17
	v_fma_f32 v19, -v15, v18, v16
	v_fmac_f32_e32 v18, v19, v17
	v_fma_f32 v15, -v15, v18, v16
	v_div_fmas_f32 v15, v15, v17, v18
	v_div_fixup_f32 v8, v15, v8, v14
	ds_write_b32 v10, v8
.LBB9_66:                               ;   in Loop: Header=BB9_63 Depth=2
	s_or_b64 exec, exec, s[2:3]
	v_cmp_lt_u32_e32 vcc, s45, v0
	v_cmp_ge_i32_e64 s[2:3], s46, v7
	s_and_b64 s[52:53], s[38:39], vcc
	s_and_b64 s[52:53], s[52:53], s[2:3]
	s_waitcnt lgkmcnt(0)
	s_barrier
	s_and_saveexec_b64 s[2:3], s[52:53]
	s_cbranch_execz .LBB9_68
; %bb.67:                               ;   in Loop: Header=BB9_63 Depth=2
	v_mov_b32_e32 v8, s21
	v_add_co_u32_e32 v14, vcc, s20, v5
	v_addc_co_u32_e32 v15, vcc, v6, v8, vcc
	flat_load_dword v8, v[14:15]
	v_mov_b32_e32 v14, s44
	ds_read_b32 v14, v14
	ds_read_b32 v15, v10
	s_waitcnt vmcnt(0) lgkmcnt(0)
	v_fma_f32 v8, -v8, v14, v15
	ds_write_b32 v10, v8
.LBB9_68:                               ;   in Loop: Header=BB9_63 Depth=2
	s_or_b64 exec, exec, s[2:3]
	s_add_i32 s46, s46, 1
	s_cmp_ge_i32 s46, s9
	s_cbranch_scc1 .LBB9_62
; %bb.69:                               ;   in Loop: Header=BB9_63 Depth=2
	s_add_i32 s45, s45, 1
	v_cmp_eq_u32_e32 vcc, s45, v0
	s_and_b64 s[52:53], s[36:37], vcc
	s_and_saveexec_b64 s[2:3], s[52:53]
	s_cbranch_execz .LBB9_71
; %bb.70:                               ;   in Loop: Header=BB9_63 Depth=2
	s_add_u32 s52, s40, s20
	s_addc_u32 s53, s41, s21
	v_mov_b32_e32 v14, s52
	v_mov_b32_e32 v15, s53
	flat_load_dword v8, v[14:15]
	ds_read_b32 v14, v10
	s_waitcnt vmcnt(0) lgkmcnt(0)
	v_div_scale_f32 v15, s[52:53], v8, v8, v14
	v_div_scale_f32 v16, vcc, v14, v8, v14
	v_rcp_f32_e32 v17, v15
	v_fma_f32 v18, -v15, v17, 1.0
	v_fmac_f32_e32 v17, v18, v17
	v_mul_f32_e32 v18, v16, v17
	v_fma_f32 v19, -v15, v18, v16
	v_fmac_f32_e32 v18, v19, v17
	v_fma_f32 v15, -v15, v18, v16
	v_div_fmas_f32 v15, v15, v17, v18
	v_div_fixup_f32 v8, v15, v8, v14
	ds_write_b32 v10, v8
.LBB9_71:                               ;   in Loop: Header=BB9_63 Depth=2
	s_or_b64 exec, exec, s[2:3]
	v_cmp_lt_u32_e32 vcc, s45, v0
	v_cmp_ge_i32_e64 s[2:3], s46, v7
	s_and_b64 s[46:47], s[38:39], vcc
	s_and_b64 s[46:47], s[46:47], s[2:3]
	s_waitcnt lgkmcnt(0)
	s_barrier
	s_and_saveexec_b64 s[2:3], s[46:47]
	s_cbranch_execz .LBB9_73
; %bb.72:                               ;   in Loop: Header=BB9_63 Depth=2
	v_mov_b32_e32 v8, s21
	v_add_co_u32_e32 v14, vcc, s20, v5
	v_addc_co_u32_e32 v15, vcc, v6, v8, vcc
	flat_load_dword v8, v[14:15] offset:4
	v_mov_b32_e32 v14, s44
	ds_read_b32 v14, v14 offset:4
	ds_read_b32 v15, v10
	s_waitcnt vmcnt(0) lgkmcnt(0)
	v_fma_f32 v8, -v8, v14, v15
	ds_write_b32 v10, v8
.LBB9_73:                               ;   in Loop: Header=BB9_63 Depth=2
	s_or_b64 exec, exec, s[2:3]
	s_add_i32 s44, s44, 8
	s_add_u32 s40, s40, s30
	s_addc_u32 s41, s41, s31
	s_add_u32 s42, s42, s30
	s_addc_u32 s43, s43, s31
	s_add_i32 s45, s45, 1
	v_add_co_u32_e32 v5, vcc, 8, v5
	s_cmpk_eq_i32 s45, 0x200
	v_addc_co_u32_e32 v6, vcc, 0, v6, vcc
	s_cselect_b64 s[2:3], -1, 0
	s_and_b64 vcc, exec, s[2:3]
	s_cbranch_vccz .LBB9_63
.LBB9_74:                               ;   in Loop: Header=BB9_59 Depth=1
	s_add_i32 s51, s50, 0x200
	s_cmp_ge_i32 s51, s9
	s_cselect_b64 s[2:3], -1, 0
	s_and_b64 vcc, exec, s[2:3]
	s_waitcnt lgkmcnt(0)
	s_barrier
	s_cbranch_vccnz .LBB9_106
; %bb.75:                               ;   in Loop: Header=BB9_59 Depth=1
	v_mad_i64_i32 v[5:6], s[38:39], v9, -4, v[3:4]
	s_mov_b64 s[38:39], 0
	v_mov_b32_e32 v14, v0
	s_mov_b32 s52, s51
                                        ; implicit-def: $sgpr40_sgpr41
	s_branch .LBB9_78
.LBB9_76:                               ;   in Loop: Header=BB9_78 Depth=2
	v_mad_u64_u32 v[7:8], s[44:45], s6, v16, 0
	s_addk_i32 s52, 0x200
	s_cmp_ge_i32 s52, s9
	v_mad_u64_u32 v[16:17], s[44:45], s7, v16, v[8:9]
	v_mov_b32_e32 v17, s33
	s_cselect_b64 s[44:45], -1, 0
	v_mov_b32_e32 v8, v16
	v_lshlrev_b64 v[7:8], 2, v[7:8]
	s_andn2_b64 s[40:41], s[40:41], exec
	v_add_co_u32_e32 v7, vcc, s8, v7
	v_addc_co_u32_e32 v8, vcc, v17, v8, vcc
	flat_load_dword v16, v[7:8]
	v_mov_b32_e32 v17, s49
	v_add_co_u32_e32 v5, vcc, s48, v5
	s_and_b64 s[44:45], s[44:45], exec
	v_addc_co_u32_e32 v6, vcc, v6, v17, vcc
	s_or_b64 s[40:41], s[40:41], s[44:45]
	s_waitcnt vmcnt(0) lgkmcnt(0)
	v_sub_f32_e32 v15, v16, v15
	flat_store_dword v[7:8], v15
.LBB9_77:                               ;   in Loop: Header=BB9_78 Depth=2
	s_or_b64 exec, exec, s[42:43]
	s_and_b64 s[42:43], exec, s[40:41]
	s_or_b64 s[38:39], s[42:43], s[38:39]
	s_andn2_b64 exec, exec, s[38:39]
	s_cbranch_execz .LBB9_105
.LBB9_78:                               ;   Parent Loop BB9_59 Depth=1
                                        ; =>  This Loop Header: Depth=2
                                        ;       Child Loop BB9_81 Depth 3
	v_add_u32_e32 v16, s52, v0
	v_cmp_gt_i32_e32 vcc, s9, v16
	s_or_b64 s[40:41], s[40:41], exec
	s_and_saveexec_b64 s[42:43], vcc
	s_cbranch_execz .LBB9_77
; %bb.79:                               ;   in Loop: Header=BB9_78 Depth=2
	v_mov_b32_e32 v8, v6
	v_subrev_u32_e32 v17, s10, v16
	v_add_u32_e32 v18, 0x1fd, v14
	v_add_u32_e32 v19, 0x1fe, v14
	;; [unrolled: 1-line block ×4, first 2 shown]
	v_mov_b32_e32 v15, 0
	s_mov_b32 s53, 0
	s_movk_i32 s54, 0x800
	v_mov_b32_e32 v7, v5
	s_branch .LBB9_81
.LBB9_80:                               ;   in Loop: Header=BB9_81 Depth=3
	s_or_b64 exec, exec, s[44:45]
	s_add_i32 s53, s53, 4
	s_add_i32 s54, s54, 16
	v_add_co_u32_e32 v7, vcc, 16, v7
	s_cmpk_eq_i32 s53, 0x200
	v_addc_co_u32_e32 v8, vcc, 0, v8, vcc
	s_cbranch_scc1 .LBB9_76
.LBB9_81:                               ;   Parent Loop BB9_59 Depth=1
                                        ;     Parent Loop BB9_78 Depth=2
                                        ; =>    This Inner Loop Header: Depth=3
	v_cmp_ne_u32_e32 vcc, s53, v14
	s_add_i32 s55, s50, s53
	s_or_b64 s[44:45], s[36:37], vcc
	s_and_saveexec_b64 s[46:47], s[44:45]
	s_xor_b64 s[44:45], exec, s[46:47]
	s_cbranch_execz .LBB9_85
; %bb.82:                               ;   in Loop: Header=BB9_81 Depth=3
	s_cmp_lt_i32 s55, s9
	s_cselect_b64 s[46:47], -1, 0
	v_cmp_ge_i32_e32 vcc, s55, v17
	s_and_b64 s[56:57], s[46:47], vcc
	s_and_saveexec_b64 s[46:47], s[56:57]
	s_cbranch_execz .LBB9_84
; %bb.83:                               ;   in Loop: Header=BB9_81 Depth=3
	flat_load_dword v21, v[7:8]
	v_mov_b32_e32 v22, s54
	ds_read_b32 v22, v22
	s_waitcnt vmcnt(0) lgkmcnt(0)
	v_fmac_f32_e32 v15, v21, v22
.LBB9_84:                               ;   in Loop: Header=BB9_81 Depth=3
	s_or_b64 exec, exec, s[46:47]
.LBB9_85:                               ;   in Loop: Header=BB9_81 Depth=3
	s_andn2_saveexec_b64 s[44:45], s[44:45]
	s_cbranch_execz .LBB9_87
; %bb.86:                               ;   in Loop: Header=BB9_81 Depth=3
	v_mov_b32_e32 v21, s54
	ds_read_b32 v21, v21
	s_waitcnt lgkmcnt(0)
	v_add_f32_e32 v15, v15, v21
.LBB9_87:                               ;   in Loop: Header=BB9_81 Depth=3
	s_or_b64 exec, exec, s[44:45]
	v_cmp_ne_u32_e32 vcc, s53, v20
	s_or_b64 s[44:45], s[36:37], vcc
	s_and_saveexec_b64 s[46:47], s[44:45]
	s_xor_b64 s[44:45], exec, s[46:47]
	s_cbranch_execz .LBB9_91
; %bb.88:                               ;   in Loop: Header=BB9_81 Depth=3
	s_add_i32 s56, s55, 1
	s_cmp_lt_i32 s56, s9
	s_cselect_b64 s[46:47], -1, 0
	v_cmp_ge_i32_e32 vcc, s56, v17
	s_and_b64 s[56:57], s[46:47], vcc
	s_and_saveexec_b64 s[46:47], s[56:57]
	s_cbranch_execz .LBB9_90
; %bb.89:                               ;   in Loop: Header=BB9_81 Depth=3
	flat_load_dword v21, v[7:8] offset:4
	v_mov_b32_e32 v22, s54
	ds_read_b32 v22, v22 offset:4
	s_waitcnt vmcnt(0) lgkmcnt(0)
	v_fmac_f32_e32 v15, v21, v22
.LBB9_90:                               ;   in Loop: Header=BB9_81 Depth=3
	s_or_b64 exec, exec, s[46:47]
.LBB9_91:                               ;   in Loop: Header=BB9_81 Depth=3
	s_andn2_saveexec_b64 s[44:45], s[44:45]
	s_cbranch_execz .LBB9_93
; %bb.92:                               ;   in Loop: Header=BB9_81 Depth=3
	v_mov_b32_e32 v21, s54
	ds_read_b32 v21, v21 offset:4
	s_waitcnt lgkmcnt(0)
	v_add_f32_e32 v15, v15, v21
.LBB9_93:                               ;   in Loop: Header=BB9_81 Depth=3
	s_or_b64 exec, exec, s[44:45]
	v_cmp_ne_u32_e32 vcc, s53, v19
	s_or_b64 s[44:45], s[36:37], vcc
	s_and_saveexec_b64 s[46:47], s[44:45]
	s_xor_b64 s[44:45], exec, s[46:47]
	s_cbranch_execz .LBB9_97
; %bb.94:                               ;   in Loop: Header=BB9_81 Depth=3
	s_add_i32 s56, s55, 2
	s_cmp_lt_i32 s56, s9
	s_cselect_b64 s[46:47], -1, 0
	v_cmp_ge_i32_e32 vcc, s56, v17
	s_and_b64 s[56:57], s[46:47], vcc
	s_and_saveexec_b64 s[46:47], s[56:57]
	s_cbranch_execz .LBB9_96
; %bb.95:                               ;   in Loop: Header=BB9_81 Depth=3
	flat_load_dword v21, v[7:8] offset:8
	v_mov_b32_e32 v22, s54
	ds_read_b32 v22, v22 offset:8
	s_waitcnt vmcnt(0) lgkmcnt(0)
	v_fmac_f32_e32 v15, v21, v22
.LBB9_96:                               ;   in Loop: Header=BB9_81 Depth=3
	s_or_b64 exec, exec, s[46:47]
.LBB9_97:                               ;   in Loop: Header=BB9_81 Depth=3
	s_andn2_saveexec_b64 s[44:45], s[44:45]
	s_cbranch_execz .LBB9_99
; %bb.98:                               ;   in Loop: Header=BB9_81 Depth=3
	v_mov_b32_e32 v21, s54
	ds_read_b32 v21, v21 offset:8
	s_waitcnt lgkmcnt(0)
	v_add_f32_e32 v15, v15, v21
.LBB9_99:                               ;   in Loop: Header=BB9_81 Depth=3
	s_or_b64 exec, exec, s[44:45]
	v_cmp_ne_u32_e32 vcc, s53, v18
	s_or_b64 s[44:45], s[36:37], vcc
	s_and_saveexec_b64 s[46:47], s[44:45]
	s_xor_b64 s[44:45], exec, s[46:47]
	s_cbranch_execz .LBB9_103
; %bb.100:                              ;   in Loop: Header=BB9_81 Depth=3
	s_add_i32 s55, s55, 3
	s_cmp_lt_i32 s55, s9
	s_cselect_b64 s[46:47], -1, 0
	v_cmp_ge_i32_e32 vcc, s55, v17
	s_and_b64 s[56:57], s[46:47], vcc
	s_and_saveexec_b64 s[46:47], s[56:57]
	s_cbranch_execz .LBB9_102
; %bb.101:                              ;   in Loop: Header=BB9_81 Depth=3
	flat_load_dword v21, v[7:8] offset:12
	v_mov_b32_e32 v22, s54
	ds_read_b32 v22, v22 offset:12
	s_waitcnt vmcnt(0) lgkmcnt(0)
	v_fmac_f32_e32 v15, v21, v22
.LBB9_102:                              ;   in Loop: Header=BB9_81 Depth=3
	s_or_b64 exec, exec, s[46:47]
.LBB9_103:                              ;   in Loop: Header=BB9_81 Depth=3
	s_andn2_saveexec_b64 s[44:45], s[44:45]
	s_cbranch_execz .LBB9_80
; %bb.104:                              ;   in Loop: Header=BB9_81 Depth=3
	v_mov_b32_e32 v21, s54
	ds_read_b32 v21, v21 offset:12
	s_waitcnt lgkmcnt(0)
	v_add_f32_e32 v15, v15, v21
	s_branch .LBB9_80
.LBB9_105:                              ;   in Loop: Header=BB9_59 Depth=1
	s_or_b64 exec, exec, s[38:39]
.LBB9_106:                              ;   in Loop: Header=BB9_59 Depth=1
	s_and_saveexec_b64 s[38:39], s[0:1]
	s_cbranch_execz .LBB9_58
; %bb.107:                              ;   in Loop: Header=BB9_59 Depth=1
	v_mad_u64_u32 v[5:6], s[0:1], s6, v13, 0
	v_mov_b32_e32 v8, s33
	v_mad_u64_u32 v[6:7], s[0:1], s7, v13, v[6:7]
	ds_read_b32 v7, v10
	v_lshlrev_b64 v[5:6], 2, v[5:6]
	v_add_co_u32_e32 v5, vcc, s8, v5
	v_addc_co_u32_e32 v6, vcc, v8, v6, vcc
	s_waitcnt lgkmcnt(0)
	flat_store_dword v[5:6], v7
	s_branch .LBB9_58
.LBB9_108:
	s_mov_b64 s[0:1], 0
.LBB9_109:
	s_andn2_b64 vcc, exec, s[0:1]
	s_cbranch_vccnz .LBB9_183
; %bb.110:
	s_mov_b64 s[0:1], -1
	s_and_b64 vcc, exec, s[24:25]
	s_cbranch_vccz .LBB9_147
; %bb.111:
	s_andn2_b64 vcc, exec, s[22:23]
	s_cbranch_vccnz .LBB9_146
; %bb.112:
	s_lshl_b64 s[24:25], s[16:17], 11
	s_lshl_b64 s[26:27], s[16:17], 2
	s_add_u32 s28, s12, s26
	s_addc_u32 s29, s13, s27
	s_lshl_b64 s[0:1], s[16:17], 3
	s_add_u32 s11, s0, -8
	v_lshlrev_b32_e32 v7, 2, v0
	v_or_b32_e32 v8, 0x200, v0
	s_addc_u32 s58, s1, -1
	s_mov_b32 s59, 0
	s_mov_b64 s[30:31], -1
	s_mov_b64 s[34:35], 0
	s_xor_b64 s[36:37], s[18:19], -1
	v_mov_b32_e32 v2, 0
	s_mov_b64 s[38:39], 0
	s_mov_b64 s[40:41], s[4:5]
	s_branch .LBB9_114
.LBB9_113:                              ;   in Loop: Header=BB9_114 Depth=1
	s_or_b64 exec, exec, s[42:43]
	s_add_u32 s40, s40, s24
	s_addc_u32 s41, s41, s25
	s_add_u32 s30, s30, 0xfffffe00
	s_addc_u32 s31, s31, -1
	s_add_u32 s38, s38, s24
	s_addc_u32 s39, s39, s25
	s_add_u32 s34, s34, 0xfffffe00
	v_add_u32_e32 v8, 0x200, v8
	s_addc_u32 s35, s35, -1
	s_and_b64 vcc, exec, s[2:3]
	s_mov_b32 s59, s60
	s_waitcnt vmcnt(0) lgkmcnt(0)
	s_barrier
	s_cbranch_vccnz .LBB9_146
.LBB9_114:                              ; =>This Loop Header: Depth=1
                                        ;     Child Loop BB9_118 Depth 2
                                        ;     Child Loop BB9_128 Depth 2
                                        ;       Child Loop BB9_131 Depth 3
	v_add_u32_e32 v9, s59, v0
	v_cmp_le_i32_e32 vcc, s9, v9
	v_cmp_gt_i32_e64 s[0:1], s9, v9
	s_and_saveexec_b64 s[42:43], s[0:1]
	s_cbranch_execz .LBB9_116
; %bb.115:                              ;   in Loop: Header=BB9_114 Depth=1
	v_mad_u64_u32 v[3:4], s[2:3], s6, v9, 0
	v_mov_b32_e32 v1, v4
	v_mad_u64_u32 v[4:5], s[2:3], s7, v9, v[1:2]
	v_mov_b32_e32 v1, s33
	v_lshlrev_b64 v[3:4], 2, v[3:4]
	v_add_co_u32_e64 v3, s[2:3], s8, v3
	v_addc_co_u32_e64 v4, s[2:3], v1, v4, s[2:3]
	flat_load_dword v1, v[3:4]
	s_waitcnt vmcnt(0) lgkmcnt(0)
	ds_write_b32 v7, v1
.LBB9_116:                              ;   in Loop: Header=BB9_114 Depth=1
	s_or_b64 exec, exec, s[42:43]
	v_subrev_u32_e32 v3, s10, v9
	s_mov_b32 s46, 0
	s_xor_b64 s[42:43], vcc, -1
	s_mov_b64 s[44:45], s[40:41]
	v_mov_b32_e32 v1, v0
	s_mov_b32 s47, 0
	s_waitcnt lgkmcnt(0)
	s_barrier
	s_branch .LBB9_118
.LBB9_117:                              ;   in Loop: Header=BB9_118 Depth=2
	s_or_b64 exec, exec, s[2:3]
	s_add_i32 s47, s47, 1
	s_add_i32 s46, s46, 4
	s_add_u32 s44, s44, s26
	s_addc_u32 s45, s45, s27
	s_cmpk_eq_i32 s47, 0x200
	v_add_u32_e32 v1, -1, v1
	s_cselect_b64 s[2:3], -1, 0
	s_and_b64 vcc, exec, s[2:3]
	s_cbranch_vccnz .LBB9_124
.LBB9_118:                              ;   Parent Loop BB9_114 Depth=1
                                        ; =>  This Inner Loop Header: Depth=2
	s_add_i32 s48, s59, s47
	s_cmp_ge_i32 s48, s9
	s_cbranch_scc1 .LBB9_123
; %bb.119:                              ;   in Loop: Header=BB9_118 Depth=2
	v_cmp_eq_u32_e32 vcc, s47, v0
	s_and_b64 s[50:51], s[36:37], vcc
	s_and_saveexec_b64 s[2:3], s[50:51]
	s_cbranch_execz .LBB9_121
; %bb.120:                              ;   in Loop: Header=BB9_118 Depth=2
	v_mov_b32_e32 v4, s44
	v_mov_b32_e32 v5, s45
	flat_load_dword v4, v[4:5]
	ds_read_b32 v5, v7
	s_waitcnt vmcnt(0) lgkmcnt(0)
	v_div_scale_f32 v6, s[50:51], v4, v4, v5
	v_div_scale_f32 v10, vcc, v5, v4, v5
	v_rcp_f32_e32 v11, v6
	v_fma_f32 v12, -v6, v11, 1.0
	v_fmac_f32_e32 v11, v12, v11
	v_mul_f32_e32 v12, v10, v11
	v_fma_f32 v13, -v6, v12, v10
	v_fmac_f32_e32 v12, v13, v11
	v_fma_f32 v6, -v6, v12, v10
	v_div_fmas_f32 v6, v6, v11, v12
	v_div_fixup_f32 v4, v6, v4, v5
	ds_write_b32 v7, v4
.LBB9_121:                              ;   in Loop: Header=BB9_118 Depth=2
	s_or_b64 exec, exec, s[2:3]
	v_cmp_lt_u32_e32 vcc, s47, v0
	v_cmp_ge_i32_e64 s[2:3], s48, v3
	s_and_b64 s[48:49], s[42:43], vcc
	s_and_b64 s[48:49], s[48:49], s[2:3]
	s_waitcnt lgkmcnt(0)
	s_barrier
	s_and_saveexec_b64 s[2:3], s[48:49]
	s_cbranch_execz .LBB9_117
; %bb.122:                              ;   in Loop: Header=BB9_118 Depth=2
	v_lshlrev_b64 v[4:5], 2, v[1:2]
	v_mov_b32_e32 v6, s45
	v_add_co_u32_e32 v4, vcc, s44, v4
	v_addc_co_u32_e32 v5, vcc, v6, v5, vcc
	flat_load_dword v4, v[4:5]
	v_mov_b32_e32 v5, s46
	ds_read_b32 v5, v5
	ds_read_b32 v6, v7
	s_waitcnt vmcnt(0) lgkmcnt(0)
	v_fma_f32 v4, -v4, v5, v6
	ds_write_b32 v7, v4
	s_branch .LBB9_117
.LBB9_123:                              ;   in Loop: Header=BB9_118 Depth=2
                                        ; implicit-def: $sgpr47
                                        ; implicit-def: $sgpr46
                                        ; implicit-def: $sgpr44_sgpr45
	s_cbranch_execz .LBB9_118
.LBB9_124:                              ;   in Loop: Header=BB9_114 Depth=1
	s_add_i32 s60, s59, 0x200
	s_cmp_ge_i32 s60, s9
	s_cselect_b64 s[2:3], -1, 0
	s_and_b64 vcc, exec, s[2:3]
	s_waitcnt lgkmcnt(0)
	s_barrier
	s_cbranch_vccnz .LBB9_144
; %bb.125:                              ;   in Loop: Header=BB9_114 Depth=1
	v_ashrrev_i32_e32 v1, 31, v8
	v_mov_b32_e32 v4, s31
	v_add_co_u32_e32 v3, vcc, s30, v8
	v_addc_co_u32_e32 v4, vcc, v4, v1, vcc
	v_mov_b32_e32 v6, s35
	v_add_co_u32_e32 v5, vcc, s34, v8
	v_addc_co_u32_e32 v6, vcc, v6, v1, vcc
	v_lshlrev_b64 v[3:4], 2, v[3:4]
	v_lshlrev_b64 v[5:6], 2, v[5:6]
	s_mov_b64 s[42:43], 0
	s_mov_b64 s[44:45], s[38:39]
	v_mov_b32_e32 v1, v0
	s_mov_b32 s61, s60
                                        ; implicit-def: $sgpr46_sgpr47
	s_branch .LBB9_128
.LBB9_126:                              ;   in Loop: Header=BB9_128 Depth=2
	v_mad_u64_u32 v[12:13], s[50:51], s6, v11, 0
	s_addk_i32 s61, 0x200
	s_add_u32 s44, s44, 0x800
	v_mad_u64_u32 v[13:14], s[50:51], s7, v11, v[13:14]
	v_mov_b32_e32 v14, s33
	s_addc_u32 s45, s45, 0
	v_lshlrev_b64 v[11:12], 2, v[12:13]
	s_cmp_ge_i32 s61, s9
	v_add_co_u32_e32 v11, vcc, s8, v11
	v_addc_co_u32_e32 v12, vcc, v14, v12, vcc
	flat_load_dword v13, v[11:12]
	s_cselect_b64 s[50:51], -1, 0
	s_andn2_b64 s[46:47], s[46:47], exec
	s_and_b64 s[50:51], s[50:51], exec
	s_or_b64 s[46:47], s[46:47], s[50:51]
	s_waitcnt vmcnt(0) lgkmcnt(0)
	v_sub_f32_e32 v10, v13, v10
	flat_store_dword v[11:12], v10
.LBB9_127:                              ;   in Loop: Header=BB9_128 Depth=2
	s_or_b64 exec, exec, s[48:49]
	s_and_b64 s[48:49], exec, s[46:47]
	s_or_b64 s[42:43], s[48:49], s[42:43]
	s_andn2_b64 exec, exec, s[42:43]
	s_cbranch_execz .LBB9_143
.LBB9_128:                              ;   Parent Loop BB9_114 Depth=1
                                        ; =>  This Loop Header: Depth=2
                                        ;       Child Loop BB9_131 Depth 3
	v_add_u32_e32 v11, s61, v0
	v_cmp_gt_i32_e32 vcc, s9, v11
	s_or_b64 s[46:47], s[46:47], exec
	s_and_saveexec_b64 s[48:49], vcc
	s_cbranch_execz .LBB9_127
; %bb.129:                              ;   in Loop: Header=BB9_128 Depth=2
	v_subrev_u32_e32 v12, s10, v11
	v_add_u32_e32 v13, 0x1ff, v1
	v_add_u32_e32 v1, 0x200, v1
	v_mov_b32_e32 v10, 0
	s_mov_b32 s62, 0
	s_mov_b64 s[50:51], s[12:13]
	s_mov_b64 s[52:53], s[28:29]
	s_mov_b32 s63, 0
	s_branch .LBB9_131
.LBB9_130:                              ;   in Loop: Header=BB9_131 Depth=3
	s_or_b64 exec, exec, s[54:55]
	s_add_i32 s63, s63, 2
	s_add_u32 s52, s52, s11
	s_addc_u32 s53, s53, s58
	s_add_i32 s62, s62, 8
	s_add_u32 s50, s50, s11
	s_addc_u32 s51, s51, s58
	s_cmpk_eq_i32 s63, 0x200
	s_cbranch_scc1 .LBB9_126
.LBB9_131:                              ;   Parent Loop BB9_114 Depth=1
                                        ;     Parent Loop BB9_128 Depth=2
                                        ; =>    This Inner Loop Header: Depth=3
	v_cmp_ne_u32_e32 vcc, s63, v1
	s_add_i32 s64, s59, s63
	s_or_b64 s[54:55], s[36:37], vcc
	s_and_saveexec_b64 s[56:57], s[54:55]
	s_xor_b64 s[54:55], exec, s[56:57]
	s_cbranch_execz .LBB9_135
; %bb.132:                              ;   in Loop: Header=BB9_131 Depth=3
	s_cmp_lt_i32 s64, s9
	s_cselect_b64 s[56:57], -1, 0
	v_cmp_ge_i32_e32 vcc, s64, v12
	s_and_b64 s[66:67], s[56:57], vcc
	s_and_saveexec_b64 s[56:57], s[66:67]
	s_cbranch_execz .LBB9_134
; %bb.133:                              ;   in Loop: Header=BB9_131 Depth=3
	s_add_u32 s65, s50, s20
	s_addc_u32 s66, s51, s21
	v_mov_b32_e32 v14, s66
	v_add_co_u32_e32 v15, vcc, s65, v5
	v_addc_co_u32_e32 v16, vcc, v14, v6, vcc
	v_mov_b32_e32 v17, s45
	v_add_co_u32_e32 v14, vcc, s44, v15
	v_addc_co_u32_e32 v15, vcc, v16, v17, vcc
	flat_load_dword v14, v[14:15]
	v_mov_b32_e32 v15, s62
	ds_read_b32 v15, v15
	s_waitcnt vmcnt(0) lgkmcnt(0)
	v_fmac_f32_e32 v10, v14, v15
.LBB9_134:                              ;   in Loop: Header=BB9_131 Depth=3
	s_or_b64 exec, exec, s[56:57]
.LBB9_135:                              ;   in Loop: Header=BB9_131 Depth=3
	s_andn2_saveexec_b64 s[54:55], s[54:55]
	s_cbranch_execz .LBB9_137
; %bb.136:                              ;   in Loop: Header=BB9_131 Depth=3
	v_mov_b32_e32 v14, s62
	ds_read_b32 v14, v14
	s_waitcnt lgkmcnt(0)
	v_add_f32_e32 v10, v10, v14
.LBB9_137:                              ;   in Loop: Header=BB9_131 Depth=3
	s_or_b64 exec, exec, s[54:55]
	v_cmp_ne_u32_e32 vcc, s63, v13
	s_or_b64 s[54:55], s[36:37], vcc
	s_and_saveexec_b64 s[56:57], s[54:55]
	s_xor_b64 s[54:55], exec, s[56:57]
	s_cbranch_execz .LBB9_141
; %bb.138:                              ;   in Loop: Header=BB9_131 Depth=3
	s_add_i32 s64, s64, 1
	s_cmp_lt_i32 s64, s9
	s_cselect_b64 s[56:57], -1, 0
	v_cmp_ge_i32_e32 vcc, s64, v12
	s_and_b64 s[64:65], s[56:57], vcc
	s_and_saveexec_b64 s[56:57], s[64:65]
	s_cbranch_execz .LBB9_140
; %bb.139:                              ;   in Loop: Header=BB9_131 Depth=3
	s_add_u32 s64, s52, s20
	s_addc_u32 s65, s53, s21
	v_mov_b32_e32 v14, s65
	v_add_co_u32_e32 v15, vcc, s64, v3
	v_addc_co_u32_e32 v16, vcc, v14, v4, vcc
	v_mov_b32_e32 v17, s45
	v_add_co_u32_e32 v14, vcc, s44, v15
	v_addc_co_u32_e32 v15, vcc, v16, v17, vcc
	flat_load_dword v14, v[14:15]
	v_mov_b32_e32 v15, s62
	ds_read_b32 v15, v15 offset:4
	s_waitcnt vmcnt(0) lgkmcnt(0)
	v_fmac_f32_e32 v10, v14, v15
.LBB9_140:                              ;   in Loop: Header=BB9_131 Depth=3
	s_or_b64 exec, exec, s[56:57]
.LBB9_141:                              ;   in Loop: Header=BB9_131 Depth=3
	s_andn2_saveexec_b64 s[54:55], s[54:55]
	s_cbranch_execz .LBB9_130
; %bb.142:                              ;   in Loop: Header=BB9_131 Depth=3
	v_mov_b32_e32 v14, s62
	ds_read_b32 v14, v14 offset:4
	s_waitcnt lgkmcnt(0)
	v_add_f32_e32 v10, v10, v14
	s_branch .LBB9_130
.LBB9_143:                              ;   in Loop: Header=BB9_114 Depth=1
	s_or_b64 exec, exec, s[42:43]
.LBB9_144:                              ;   in Loop: Header=BB9_114 Depth=1
	s_and_saveexec_b64 s[42:43], s[0:1]
	s_cbranch_execz .LBB9_113
; %bb.145:                              ;   in Loop: Header=BB9_114 Depth=1
	v_mad_u64_u32 v[3:4], s[0:1], s6, v9, 0
	v_mov_b32_e32 v1, v4
	v_mad_u64_u32 v[4:5], s[0:1], s7, v9, v[1:2]
	ds_read_b32 v1, v7
	v_mov_b32_e32 v5, s33
	v_lshlrev_b64 v[3:4], 2, v[3:4]
	v_add_co_u32_e32 v3, vcc, s8, v3
	v_addc_co_u32_e32 v4, vcc, v5, v4, vcc
	s_waitcnt lgkmcnt(0)
	flat_store_dword v[3:4], v1
	s_branch .LBB9_113
.LBB9_146:
	s_mov_b64 s[0:1], 0
.LBB9_147:
	s_andn2_b64 vcc, exec, s[0:1]
	s_cbranch_vccnz .LBB9_183
; %bb.148:
	s_andn2_b64 vcc, exec, s[22:23]
	s_cbranch_vccnz .LBB9_183
; %bb.149:
	s_ashr_i32 s11, s10, 31
	s_add_i32 s26, s9, 0xfffffe00
	s_add_i32 s22, s9, -1
	s_lshl_b64 s[0:1], s[10:11], 2
	s_add_u32 s2, s20, s0
	s_addc_u32 s3, s21, s1
	s_ashr_i32 s23, s22, 31
	s_lshl_b64 s[0:1], s[22:23], 2
	s_sub_u32 s0, s2, s0
	s_subb_u32 s1, s3, s1
	s_add_u32 s20, s12, s0
	s_addc_u32 s21, s13, s1
	s_lshl_b64 s[24:25], s[16:17], 2
	s_add_u32 s23, s24, 4
	s_addc_u32 s36, s25, 0
	s_sub_i32 s0, s10, s9
	s_add_i32 s37, s0, 0x1ff
	s_add_u32 s0, s14, s10
	s_addc_u32 s1, s15, s11
	s_ashr_i32 s3, s9, 31
	s_mov_b32 s2, s9
	s_lshl_b64 s[0:1], s[0:1], 2
	s_lshl_b64 s[2:3], s[2:3], 2
	s_sub_u32 s0, s0, s2
	s_subb_u32 s1, s1, s3
	s_add_u32 s0, s12, s0
	s_addc_u32 s1, s13, s1
	s_add_u32 s11, s0, 0x800
	s_addc_u32 s38, s1, 0
	s_lshl_b64 s[0:1], s[16:17], 3
	v_mov_b32_e32 v1, 0x1000
	v_add_u32_e32 v2, s9, v0
	s_add_u32 s39, s0, -8
	v_lshl_or_b32 v8, v0, 2, v1
	v_add_u32_e32 v1, 0xfffffe00, v2
	v_add_u32_e32 v9, 0xfffffc00, v2
	s_addc_u32 s40, s1, -1
	v_mov_b32_e32 v3, 0
	s_xor_b64 s[12:13], s[18:19], -1
	s_branch .LBB9_151
.LBB9_150:                              ;   in Loop: Header=BB9_151 Depth=1
	s_or_b64 exec, exec, s[14:15]
	s_addk_i32 s22, 0xfe00
	s_add_u32 s20, s20, 0x800
	s_addc_u32 s21, s21, 0
	s_addk_i32 s9, 0xfe00
	s_addk_i32 s37, 0x200
	s_add_u32 s11, s11, 0x800
	v_add_u32_e32 v1, 0xfffffe00, v1
	s_addc_u32 s38, s38, 0
	v_add_u32_e32 v9, 0xfffffe00, v9
	s_and_b64 vcc, exec, s[2:3]
	s_mov_b32 s26, s41
	s_waitcnt vmcnt(0) lgkmcnt(0)
	s_barrier
	s_cbranch_vccnz .LBB9_183
.LBB9_151:                              ; =>This Loop Header: Depth=1
                                        ;     Child Loop BB9_156 Depth 2
                                        ;     Child Loop BB9_165 Depth 2
                                        ;       Child Loop BB9_168 Depth 3
	v_add_u32_e32 v10, s26, v0
	v_cmp_gt_i32_e32 vcc, 0, v10
	v_cmp_lt_i32_e64 s[0:1], -1, v10
	s_and_saveexec_b64 s[14:15], s[0:1]
	s_cbranch_execz .LBB9_153
; %bb.152:                              ;   in Loop: Header=BB9_151 Depth=1
	v_mad_u64_u32 v[4:5], s[2:3], s6, v10, 0
	v_mov_b32_e32 v2, v5
	v_mad_u64_u32 v[5:6], s[2:3], s7, v10, v[2:3]
	v_mov_b32_e32 v2, s33
	v_lshlrev_b64 v[4:5], 2, v[4:5]
	v_add_co_u32_e64 v4, s[2:3], s8, v4
	v_addc_co_u32_e64 v5, s[2:3], v2, v5, s[2:3]
	flat_load_dword v2, v[4:5]
	s_waitcnt vmcnt(0) lgkmcnt(0)
	ds_write_b32 v8, v2
.LBB9_153:                              ;   in Loop: Header=BB9_151 Depth=1
	s_or_b64 exec, exec, s[14:15]
	v_mov_b32_e32 v2, v3
	v_lshlrev_b64 v[4:5], 2, v[1:2]
	v_mov_b32_e32 v2, s21
	v_add_co_u32_e64 v4, s[2:3], s20, v4
	v_mov_b32_e32 v6, s20
	v_addc_co_u32_e64 v5, s[2:3], v2, v5, s[2:3]
	v_add_u32_e32 v2, s10, v10
	s_movk_i32 s18, 0x1ff
	s_movk_i32 s19, 0x17fc
	v_mov_b32_e32 v7, s21
	s_xor_b64 s[14:15], vcc, -1
	s_mov_b32 s27, s22
	s_waitcnt lgkmcnt(0)
	s_barrier
	s_branch .LBB9_156
.LBB9_154:                              ;   in Loop: Header=BB9_156 Depth=2
	s_or_b64 exec, exec, s[2:3]
	v_add_co_u32_e32 v4, vcc, 4, v4
	s_add_i32 s18, s18, -1
	s_add_i32 s19, s19, -4
	v_addc_co_u32_e32 v5, vcc, 0, v5, vcc
	s_add_i32 s27, s27, -1
	v_add_co_u32_e32 v6, vcc, 4, v6
	s_cmp_eq_u32 s18, -1
	v_addc_co_u32_e32 v7, vcc, 0, v7, vcc
	s_cselect_b64 s[2:3], -1, 0
.LBB9_155:                              ;   in Loop: Header=BB9_156 Depth=2
	s_and_b64 vcc, exec, s[2:3]
	s_cbranch_vccnz .LBB9_161
.LBB9_156:                              ;   Parent Loop BB9_151 Depth=1
                                        ; =>  This Inner Loop Header: Depth=2
	s_add_i32 s28, s22, s18
	s_addk_i32 s28, 0xfe01
	s_cmp_lt_i32 s28, 0
	s_mov_b64 s[2:3], -1
	s_cbranch_scc1 .LBB9_155
; %bb.157:                              ;   in Loop: Header=BB9_156 Depth=2
	v_cmp_eq_u32_e32 vcc, s18, v0
	s_and_b64 s[30:31], s[12:13], vcc
	s_and_saveexec_b64 s[2:3], s[30:31]
	s_cbranch_execz .LBB9_159
; %bb.158:                              ;   in Loop: Header=BB9_156 Depth=2
	s_mul_i32 s29, s36, s27
	s_mul_hi_u32 s30, s23, s27
	s_add_i32 s29, s30, s29
	s_mul_i32 s30, s23, s27
	v_mov_b32_e32 v12, s29
	v_add_co_u32_e32 v11, vcc, s30, v6
	v_addc_co_u32_e32 v12, vcc, v7, v12, vcc
	flat_load_dword v11, v[11:12]
	ds_read_b32 v12, v8
	s_waitcnt vmcnt(0) lgkmcnt(0)
	v_div_scale_f32 v13, s[30:31], v11, v11, v12
	v_div_scale_f32 v14, vcc, v12, v11, v12
	v_rcp_f32_e32 v15, v13
	v_fma_f32 v16, -v13, v15, 1.0
	v_fmac_f32_e32 v15, v16, v15
	v_mul_f32_e32 v16, v14, v15
	v_fma_f32 v17, -v13, v16, v14
	v_fmac_f32_e32 v16, v17, v15
	v_fma_f32 v13, -v13, v16, v14
	v_div_fmas_f32 v13, v13, v15, v16
	v_div_fixup_f32 v11, v13, v11, v12
	ds_write_b32 v8, v11
.LBB9_159:                              ;   in Loop: Header=BB9_156 Depth=2
	s_or_b64 exec, exec, s[2:3]
	v_cmp_gt_u32_e32 vcc, s18, v0
	v_cmp_le_i32_e64 s[2:3], s28, v2
	s_and_b64 s[28:29], s[14:15], vcc
	s_and_b64 s[28:29], s[28:29], s[2:3]
	s_waitcnt lgkmcnt(0)
	s_barrier
	s_and_saveexec_b64 s[2:3], s[28:29]
	s_cbranch_execz .LBB9_154
; %bb.160:                              ;   in Loop: Header=BB9_156 Depth=2
	v_mov_b32_e32 v11, s27
	v_mad_u64_u32 v[11:12], s[28:29], s24, v11, v[4:5]
	s_mul_i32 s28, s25, s27
	v_add_u32_e32 v12, s28, v12
	flat_load_dword v11, v[11:12]
	v_mov_b32_e32 v12, s19
	ds_read_b32 v12, v12
	ds_read_b32 v13, v8
	s_waitcnt vmcnt(0) lgkmcnt(0)
	v_fma_f32 v11, -v11, v12, v13
	ds_write_b32 v8, v11
	s_branch .LBB9_154
.LBB9_161:                              ;   in Loop: Header=BB9_151 Depth=1
	s_add_i32 s41, s26, 0xfffffe00
	s_cmp_lt_i32 s26, 1
	s_cselect_b64 s[2:3], -1, 0
	s_and_b64 vcc, exec, s[2:3]
	s_waitcnt lgkmcnt(0)
	s_barrier
	s_cbranch_vccnz .LBB9_181
; %bb.162:                              ;   in Loop: Header=BB9_151 Depth=1
	s_mul_i32 s14, s25, s26
	s_mul_hi_u32 s15, s24, s26
	s_add_i32 s15, s15, s14
	s_mul_i32 s14, s24, s26
	s_add_u32 s42, s11, s14
	s_addc_u32 s43, s38, s15
	s_mov_b64 s[14:15], 0
	v_mov_b32_e32 v4, v9
	v_mov_b32_e32 v7, v0
	s_mov_b32 s44, s41
                                        ; implicit-def: $sgpr18_sgpr19
	s_branch .LBB9_165
.LBB9_163:                              ;   in Loop: Header=BB9_165 Depth=2
	v_mad_u64_u32 v[5:6], s[28:29], s6, v2, 0
	s_add_i32 s30, s44, 0xfffffe00
	s_cmp_lt_i32 s44, 1
	v_mad_u64_u32 v[12:13], s[28:29], s7, v2, v[6:7]
	v_mov_b32_e32 v2, s33
	s_cselect_b64 s[28:29], -1, 0
	v_mov_b32_e32 v6, v12
	v_lshlrev_b64 v[5:6], 2, v[5:6]
	s_andn2_b64 s[18:19], s[18:19], exec
	v_add_co_u32_e32 v5, vcc, s8, v5
	v_addc_co_u32_e32 v6, vcc, v2, v6, vcc
	flat_load_dword v2, v[5:6]
	s_and_b64 s[28:29], s[28:29], exec
	v_add_u32_e32 v4, 0xfffffe00, v4
	s_or_b64 s[18:19], s[18:19], s[28:29]
	s_mov_b32 s44, s30
	s_waitcnt vmcnt(0) lgkmcnt(0)
	v_sub_f32_e32 v2, v2, v11
	flat_store_dword v[5:6], v2
.LBB9_164:                              ;   in Loop: Header=BB9_165 Depth=2
	s_or_b64 exec, exec, s[26:27]
	s_and_b64 s[26:27], exec, s[18:19]
	s_or_b64 s[14:15], s[26:27], s[14:15]
	s_andn2_b64 exec, exec, s[14:15]
	s_cbranch_execz .LBB9_180
.LBB9_165:                              ;   Parent Loop BB9_151 Depth=1
                                        ; =>  This Loop Header: Depth=2
                                        ;       Child Loop BB9_168 Depth 3
	v_add_u32_e32 v2, s44, v0
	v_cmp_lt_i32_e32 vcc, -1, v2
	s_or_b64 s[18:19], s[18:19], exec
	s_and_saveexec_b64 s[26:27], vcc
	s_cbranch_execz .LBB9_164
; %bb.166:                              ;   in Loop: Header=BB9_165 Depth=2
	v_mov_b32_e32 v5, v3
	v_lshlrev_b64 v[5:6], 2, v[4:5]
	v_mov_b32_e32 v11, s43
	v_add_co_u32_e32 v5, vcc, s42, v5
	v_lshlrev_b64 v[13:14], 2, v[2:3]
	v_addc_co_u32_e32 v6, vcc, v11, v6, vcc
	v_mov_b32_e32 v11, s5
	v_add_co_u32_e32 v13, vcc, s4, v13
	v_add_u32_e32 v12, s10, v2
	v_addc_co_u32_e32 v14, vcc, v11, v14, vcc
	v_add_u32_e32 v15, 0xfffffdff, v7
	v_add_u32_e32 v7, 0xfffffe00, v7
	v_mov_b32_e32 v11, 0
	s_mov_b32 s45, 0
	s_movk_i32 s46, 0x1000
	s_mov_b32 s28, s37
	s_branch .LBB9_168
.LBB9_167:                              ;   in Loop: Header=BB9_168 Depth=3
	s_or_b64 exec, exec, s[30:31]
	s_add_i32 s45, s45, 2
	s_add_i32 s46, s46, 8
	s_add_i32 s28, s28, -2
	v_mov_b32_e32 v16, s40
	v_add_co_u32_e32 v5, vcc, s39, v5
	s_cmpk_eq_i32 s45, 0x200
	v_addc_co_u32_e32 v6, vcc, v6, v16, vcc
	s_cbranch_scc1 .LBB9_163
.LBB9_168:                              ;   Parent Loop BB9_151 Depth=1
                                        ;     Parent Loop BB9_165 Depth=2
                                        ; =>    This Inner Loop Header: Depth=3
	v_cmp_ne_u32_e32 vcc, s45, v7
	s_add_i32 s29, s9, s45
	s_or_b64 s[30:31], s[12:13], vcc
	s_and_saveexec_b64 s[34:35], s[30:31]
	s_xor_b64 s[30:31], exec, s[34:35]
	s_cbranch_execz .LBB9_172
; %bb.169:                              ;   in Loop: Header=BB9_168 Depth=3
	s_add_i32 s34, s29, 0xfffffe00
	v_cmp_le_i32_e32 vcc, s34, v12
	s_and_saveexec_b64 s[34:35], vcc
	s_cbranch_execz .LBB9_171
; %bb.170:                              ;   in Loop: Header=BB9_168 Depth=3
	flat_load_dword v16, v[5:6]
	v_mov_b32_e32 v17, s46
	ds_read_b32 v17, v17
	s_waitcnt vmcnt(0) lgkmcnt(0)
	v_fmac_f32_e32 v11, v16, v17
.LBB9_171:                              ;   in Loop: Header=BB9_168 Depth=3
	s_or_b64 exec, exec, s[34:35]
.LBB9_172:                              ;   in Loop: Header=BB9_168 Depth=3
	s_andn2_saveexec_b64 s[30:31], s[30:31]
	s_cbranch_execz .LBB9_174
; %bb.173:                              ;   in Loop: Header=BB9_168 Depth=3
	v_mov_b32_e32 v16, s46
	ds_read_b32 v16, v16
	s_waitcnt lgkmcnt(0)
	v_add_f32_e32 v11, v11, v16
.LBB9_174:                              ;   in Loop: Header=BB9_168 Depth=3
	s_or_b64 exec, exec, s[30:31]
	v_cmp_ne_u32_e32 vcc, s45, v15
	s_or_b64 s[30:31], s[12:13], vcc
	s_and_saveexec_b64 s[34:35], s[30:31]
	s_xor_b64 s[30:31], exec, s[34:35]
	s_cbranch_execz .LBB9_178
; %bb.175:                              ;   in Loop: Header=BB9_168 Depth=3
	s_add_i32 s47, s29, 0xfffffe01
	v_cmp_le_i32_e32 vcc, s47, v12
	s_and_saveexec_b64 s[34:35], vcc
	s_cbranch_execz .LBB9_177
; %bb.176:                              ;   in Loop: Header=BB9_168 Depth=3
	s_mul_i32 s48, s17, s47
	s_mul_hi_u32 s49, s16, s47
	s_add_i32 s49, s49, s48
	s_mul_i32 s48, s16, s47
	s_lshl_b64 s[48:49], s[48:49], 2
	s_ashr_i32 s29, s28, 31
	v_mov_b32_e32 v16, s49
	v_add_co_u32_e32 v17, vcc, s48, v13
	v_addc_co_u32_e32 v18, vcc, v14, v16, vcc
	s_lshl_b64 s[48:49], s[28:29], 2
	v_mov_b32_e32 v19, s49
	v_add_co_u32_e32 v16, vcc, s48, v17
	v_addc_co_u32_e32 v17, vcc, v18, v19, vcc
	flat_load_dword v16, v[16:17]
	v_mov_b32_e32 v17, s46
	ds_read_b32 v17, v17 offset:4
	s_waitcnt vmcnt(0) lgkmcnt(0)
	v_fmac_f32_e32 v11, v16, v17
.LBB9_177:                              ;   in Loop: Header=BB9_168 Depth=3
	s_or_b64 exec, exec, s[34:35]
.LBB9_178:                              ;   in Loop: Header=BB9_168 Depth=3
	s_andn2_saveexec_b64 s[30:31], s[30:31]
	s_cbranch_execz .LBB9_167
; %bb.179:                              ;   in Loop: Header=BB9_168 Depth=3
	v_mov_b32_e32 v16, s46
	ds_read_b32 v16, v16 offset:4
	s_waitcnt lgkmcnt(0)
	v_add_f32_e32 v11, v11, v16
	s_branch .LBB9_167
.LBB9_180:                              ;   in Loop: Header=BB9_151 Depth=1
	s_or_b64 exec, exec, s[14:15]
.LBB9_181:                              ;   in Loop: Header=BB9_151 Depth=1
	s_and_saveexec_b64 s[14:15], s[0:1]
	s_cbranch_execz .LBB9_150
; %bb.182:                              ;   in Loop: Header=BB9_151 Depth=1
	v_mad_u64_u32 v[4:5], s[0:1], s6, v10, 0
	v_mov_b32_e32 v2, v5
	v_mad_u64_u32 v[5:6], s[0:1], s7, v10, v[2:3]
	ds_read_b32 v2, v8
	v_mov_b32_e32 v6, s33
	v_lshlrev_b64 v[4:5], 2, v[4:5]
	v_add_co_u32_e32 v4, vcc, s8, v4
	v_addc_co_u32_e32 v5, vcc, v6, v5, vcc
	s_waitcnt lgkmcnt(0)
	flat_store_dword v[4:5], v2
	s_branch .LBB9_150
.LBB9_183:
	s_endpgm
	.section	.rodata,"a",@progbits
	.p2align	6, 0x0
	.amdhsa_kernel _ZL19rocblas_tbsv_kernelILb0ELi512EPKPKfPKPfEv18rocblas_operation_bbiiT1_lllT2_lll
		.amdhsa_group_segment_fixed_size 8192
		.amdhsa_private_segment_fixed_size 0
		.amdhsa_kernarg_size 80
		.amdhsa_user_sgpr_count 6
		.amdhsa_user_sgpr_private_segment_buffer 1
		.amdhsa_user_sgpr_dispatch_ptr 0
		.amdhsa_user_sgpr_queue_ptr 0
		.amdhsa_user_sgpr_kernarg_segment_ptr 1
		.amdhsa_user_sgpr_dispatch_id 0
		.amdhsa_user_sgpr_flat_scratch_init 0
		.amdhsa_user_sgpr_private_segment_size 0
		.amdhsa_uses_dynamic_stack 0
		.amdhsa_system_sgpr_private_segment_wavefront_offset 0
		.amdhsa_system_sgpr_workgroup_id_x 1
		.amdhsa_system_sgpr_workgroup_id_y 0
		.amdhsa_system_sgpr_workgroup_id_z 0
		.amdhsa_system_sgpr_workgroup_info 0
		.amdhsa_system_vgpr_workitem_id 0
		.amdhsa_next_free_vgpr 23
		.amdhsa_next_free_sgpr 68
		.amdhsa_reserve_vcc 1
		.amdhsa_reserve_flat_scratch 0
		.amdhsa_float_round_mode_32 0
		.amdhsa_float_round_mode_16_64 0
		.amdhsa_float_denorm_mode_32 3
		.amdhsa_float_denorm_mode_16_64 3
		.amdhsa_dx10_clamp 1
		.amdhsa_ieee_mode 1
		.amdhsa_fp16_overflow 0
		.amdhsa_exception_fp_ieee_invalid_op 0
		.amdhsa_exception_fp_denorm_src 0
		.amdhsa_exception_fp_ieee_div_zero 0
		.amdhsa_exception_fp_ieee_overflow 0
		.amdhsa_exception_fp_ieee_underflow 0
		.amdhsa_exception_fp_ieee_inexact 0
		.amdhsa_exception_int_div_zero 0
	.end_amdhsa_kernel
	.section	.text._ZL19rocblas_tbsv_kernelILb0ELi512EPKPKfPKPfEv18rocblas_operation_bbiiT1_lllT2_lll,"axG",@progbits,_ZL19rocblas_tbsv_kernelILb0ELi512EPKPKfPKPfEv18rocblas_operation_bbiiT1_lllT2_lll,comdat
.Lfunc_end9:
	.size	_ZL19rocblas_tbsv_kernelILb0ELi512EPKPKfPKPfEv18rocblas_operation_bbiiT1_lllT2_lll, .Lfunc_end9-_ZL19rocblas_tbsv_kernelILb0ELi512EPKPKfPKPfEv18rocblas_operation_bbiiT1_lllT2_lll
                                        ; -- End function
	.set _ZL19rocblas_tbsv_kernelILb0ELi512EPKPKfPKPfEv18rocblas_operation_bbiiT1_lllT2_lll.num_vgpr, 23
	.set _ZL19rocblas_tbsv_kernelILb0ELi512EPKPKfPKPfEv18rocblas_operation_bbiiT1_lllT2_lll.num_agpr, 0
	.set _ZL19rocblas_tbsv_kernelILb0ELi512EPKPKfPKPfEv18rocblas_operation_bbiiT1_lllT2_lll.numbered_sgpr, 68
	.set _ZL19rocblas_tbsv_kernelILb0ELi512EPKPKfPKPfEv18rocblas_operation_bbiiT1_lllT2_lll.num_named_barrier, 0
	.set _ZL19rocblas_tbsv_kernelILb0ELi512EPKPKfPKPfEv18rocblas_operation_bbiiT1_lllT2_lll.private_seg_size, 0
	.set _ZL19rocblas_tbsv_kernelILb0ELi512EPKPKfPKPfEv18rocblas_operation_bbiiT1_lllT2_lll.uses_vcc, 1
	.set _ZL19rocblas_tbsv_kernelILb0ELi512EPKPKfPKPfEv18rocblas_operation_bbiiT1_lllT2_lll.uses_flat_scratch, 0
	.set _ZL19rocblas_tbsv_kernelILb0ELi512EPKPKfPKPfEv18rocblas_operation_bbiiT1_lllT2_lll.has_dyn_sized_stack, 0
	.set _ZL19rocblas_tbsv_kernelILb0ELi512EPKPKfPKPfEv18rocblas_operation_bbiiT1_lllT2_lll.has_recursion, 0
	.set _ZL19rocblas_tbsv_kernelILb0ELi512EPKPKfPKPfEv18rocblas_operation_bbiiT1_lllT2_lll.has_indirect_call, 0
	.section	.AMDGPU.csdata,"",@progbits
; Kernel info:
; codeLenInByte = 6464
; TotalNumSgprs: 72
; NumVgprs: 23
; ScratchSize: 0
; MemoryBound: 0
; FloatMode: 240
; IeeeMode: 1
; LDSByteSize: 8192 bytes/workgroup (compile time only)
; SGPRBlocks: 8
; VGPRBlocks: 5
; NumSGPRsForWavesPerEU: 72
; NumVGPRsForWavesPerEU: 23
; Occupancy: 10
; WaveLimiterHint : 1
; COMPUTE_PGM_RSRC2:SCRATCH_EN: 0
; COMPUTE_PGM_RSRC2:USER_SGPR: 6
; COMPUTE_PGM_RSRC2:TRAP_HANDLER: 0
; COMPUTE_PGM_RSRC2:TGID_X_EN: 1
; COMPUTE_PGM_RSRC2:TGID_Y_EN: 0
; COMPUTE_PGM_RSRC2:TGID_Z_EN: 0
; COMPUTE_PGM_RSRC2:TIDIG_COMP_CNT: 0
	.section	.text._ZL19rocblas_tbsv_kernelILb1ELi512EPKPKdPKPdEv18rocblas_operation_bbiiT1_lllT2_lll,"axG",@progbits,_ZL19rocblas_tbsv_kernelILb1ELi512EPKPKdPKPdEv18rocblas_operation_bbiiT1_lllT2_lll,comdat
	.globl	_ZL19rocblas_tbsv_kernelILb1ELi512EPKPKdPKPdEv18rocblas_operation_bbiiT1_lllT2_lll ; -- Begin function _ZL19rocblas_tbsv_kernelILb1ELi512EPKPKdPKPdEv18rocblas_operation_bbiiT1_lllT2_lll
	.p2align	8
	.type	_ZL19rocblas_tbsv_kernelILb1ELi512EPKPKdPKPdEv18rocblas_operation_bbiiT1_lllT2_lll,@function
_ZL19rocblas_tbsv_kernelILb1ELi512EPKPKdPKPdEv18rocblas_operation_bbiiT1_lllT2_lll: ; @_ZL19rocblas_tbsv_kernelILb1ELi512EPKPKdPKPdEv18rocblas_operation_bbiiT1_lllT2_lll
; %bb.0:
	s_load_dwordx2 s[26:27], s[4:5], 0x0
	s_load_dwordx4 s[8:11], s[4:5], 0x4
	s_load_dwordx4 s[12:15], s[4:5], 0x10
	s_load_dwordx2 s[16:17], s[4:5], 0x20
	s_mov_b32 s7, 0
	s_waitcnt lgkmcnt(0)
	s_bitcmp1_b32 s27, 0
	s_cselect_b64 s[0:1], -1, 0
	s_xor_b64 s[24:25], s[0:1], -1
	s_bitcmp1_b32 s8, 8
	s_cselect_b64 s[18:19], -1, 0
	s_lshl_b64 s[22:23], s[6:7], 3
	s_add_u32 s20, s12, s22
	s_addc_u32 s21, s13, s23
	s_load_dwordx2 s[12:13], s[20:21], 0x0
	s_load_dwordx4 s[0:3], s[4:5], 0x30
	s_load_dwordx2 s[6:7], s[4:5], 0x40
	s_lshl_b64 s[20:21], s[14:15], 3
	s_waitcnt lgkmcnt(0)
	s_add_u32 s4, s12, s20
	s_addc_u32 s5, s13, s21
	s_add_u32 s0, s0, s22
	s_addc_u32 s1, s1, s23
	s_load_dwordx2 s[0:1], s[0:1], 0x0
	s_lshl_b64 s[2:3], s[2:3], 3
	s_waitcnt lgkmcnt(0)
	s_add_u32 s8, s0, s2
	s_addc_u32 s33, s1, s3
	s_cmp_gt_i32 s9, 0
	s_cselect_b64 s[22:23], -1, 0
	s_cmpk_lg_i32 s26, 0x6f
	s_mov_b64 s[0:1], -1
	s_cbranch_scc0 .LBB10_99
; %bb.1:
	s_and_b64 vcc, exec, s[24:25]
	s_cbranch_vccz .LBB10_50
; %bb.2:
	s_andn2_b64 vcc, exec, s[22:23]
	s_cbranch_vccnz .LBB10_49
; %bb.3:
	s_ashr_i32 s1, s9, 31
	s_mov_b32 s0, s9
	s_add_i32 s36, s9, 0xfffffe00
	s_add_i32 s11, s9, -1
	s_lshl_b64 s[0:1], s[0:1], 3
	s_add_u32 s0, s20, s0
	s_addc_u32 s1, s21, s1
	s_add_u32 s0, s12, s0
	v_mov_b32_e32 v1, 0x3000
	s_addc_u32 s1, s13, s1
	v_lshl_or_b32 v9, v0, 3, v1
	s_add_u32 s26, s0, 0xfffff000
	v_add_u32_e32 v1, s9, v0
	v_sub_u32_e32 v10, 0, v0
	s_addc_u32 s27, s1, -1
	v_add_u32_e32 v11, 0xfffffc00, v1
	s_lshl_b64 s[28:29], s[16:17], 3
	v_mov_b32_e32 v12, s5
	s_xor_b64 s[30:31], s[18:19], -1
	v_mov_b32_e32 v2, 0
	s_mov_b32 s44, s9
	s_branch .LBB10_5
.LBB10_4:                               ;   in Loop: Header=BB10_5 Depth=1
	s_or_b64 exec, exec, s[34:35]
	s_addk_i32 s11, 0xfe00
	s_addk_i32 s44, 0xfe00
	s_add_u32 s26, s26, 0xfffff000
	s_addc_u32 s27, s27, -1
	v_add_u32_e32 v11, 0xfffffe00, v11
	s_andn2_b64 vcc, exec, s[2:3]
	s_mov_b32 s36, s45
	s_waitcnt vmcnt(0) lgkmcnt(0)
	s_barrier
	s_cbranch_vccz .LBB10_49
.LBB10_5:                               ; =>This Loop Header: Depth=1
                                        ;     Child Loop BB10_10 Depth 2
                                        ;     Child Loop BB10_19 Depth 2
                                        ;       Child Loop BB10_22 Depth 3
	v_add_u32_e32 v13, s36, v0
	v_cmp_gt_i32_e32 vcc, 0, v13
	v_cmp_lt_i32_e64 s[0:1], -1, v13
	s_and_saveexec_b64 s[34:35], s[0:1]
	s_cbranch_execz .LBB10_7
; %bb.6:                                ;   in Loop: Header=BB10_5 Depth=1
	v_mad_u64_u32 v[3:4], s[2:3], s6, v13, 0
	v_mov_b32_e32 v1, v4
	v_mad_u64_u32 v[4:5], s[2:3], s7, v13, v[1:2]
	v_mov_b32_e32 v1, s33
	v_lshlrev_b64 v[3:4], 3, v[3:4]
	v_add_co_u32_e64 v3, s[2:3], s8, v3
	v_addc_co_u32_e64 v4, s[2:3], v1, v4, s[2:3]
	flat_load_dwordx2 v[3:4], v[3:4]
	s_waitcnt vmcnt(0) lgkmcnt(0)
	ds_write_b64 v9, v[3:4]
.LBB10_7:                               ;   in Loop: Header=BB10_5 Depth=1
	s_or_b64 exec, exec, s[34:35]
	v_ashrrev_i32_e32 v1, 31, v13
	v_mul_lo_u32 v6, s17, v13
	v_mul_lo_u32 v1, s16, v1
	v_mad_u64_u32 v[4:5], s[2:3], s16, v13, 0
	v_add_u32_e32 v3, s10, v13
	s_movk_i32 s37, 0x1ff
	v_add3_u32 v5, v5, v1, v6
	v_lshlrev_b64 v[4:5], 3, v[4:5]
	s_movk_i32 s38, 0x3ff8
	v_add_co_u32_e64 v4, s[2:3], s4, v4
	v_addc_co_u32_e64 v5, s[2:3], v12, v5, s[2:3]
	s_xor_b64 s[34:35], vcc, -1
	s_waitcnt lgkmcnt(0)
	s_barrier
	s_branch .LBB10_10
.LBB10_8:                               ;   in Loop: Header=BB10_10 Depth=2
	s_or_b64 exec, exec, s[2:3]
	s_add_i32 s37, s37, -1
	s_add_i32 s38, s38, -8
	s_cmp_eq_u32 s37, -1
	s_cselect_b64 s[2:3], -1, 0
.LBB10_9:                               ;   in Loop: Header=BB10_10 Depth=2
	s_and_b64 vcc, exec, s[2:3]
	s_cbranch_vccnz .LBB10_15
.LBB10_10:                              ;   Parent Loop BB10_5 Depth=1
                                        ; =>  This Inner Loop Header: Depth=2
	s_add_i32 s39, s11, s37
	s_addk_i32 s39, 0xfe01
	s_cmp_lt_i32 s39, 0
	s_mov_b64 s[2:3], -1
	s_cbranch_scc1 .LBB10_9
; %bb.11:                               ;   in Loop: Header=BB10_10 Depth=2
	v_add_u32_e32 v1, s37, v10
	v_cmp_eq_u32_e32 vcc, 0, v1
	s_and_b64 s[40:41], s[30:31], vcc
	s_and_saveexec_b64 s[2:3], s[40:41]
	s_cbranch_execz .LBB10_13
; %bb.12:                               ;   in Loop: Header=BB10_10 Depth=2
	s_mul_i32 s40, s17, s39
	s_mul_hi_u32 s41, s16, s39
	s_add_i32 s41, s41, s40
	s_mul_i32 s40, s16, s39
	s_lshl_b64 s[40:41], s[40:41], 3
	s_add_u32 s40, s4, s40
	s_addc_u32 s41, s5, s41
	v_mov_b32_e32 v6, s40
	v_mov_b32_e32 v7, s41
	flat_load_dwordx2 v[6:7], v[6:7]
	ds_read_b64 v[14:15], v9
	s_waitcnt vmcnt(0) lgkmcnt(0)
	v_div_scale_f64 v[16:17], s[40:41], v[6:7], v[6:7], v[14:15]
	v_div_scale_f64 v[22:23], vcc, v[14:15], v[6:7], v[14:15]
	v_rcp_f64_e32 v[18:19], v[16:17]
	v_fma_f64 v[20:21], -v[16:17], v[18:19], 1.0
	v_fma_f64 v[18:19], v[18:19], v[20:21], v[18:19]
	v_fma_f64 v[20:21], -v[16:17], v[18:19], 1.0
	v_fma_f64 v[18:19], v[18:19], v[20:21], v[18:19]
	v_mul_f64 v[20:21], v[22:23], v[18:19]
	v_fma_f64 v[16:17], -v[16:17], v[20:21], v[22:23]
	v_div_fmas_f64 v[16:17], v[16:17], v[18:19], v[20:21]
	v_div_fixup_f64 v[6:7], v[16:17], v[6:7], v[14:15]
	ds_write_b64 v9, v[6:7]
.LBB10_13:                              ;   in Loop: Header=BB10_10 Depth=2
	s_or_b64 exec, exec, s[2:3]
	v_cmp_gt_u32_e32 vcc, s37, v0
	v_cmp_le_i32_e64 s[2:3], s39, v3
	s_and_b64 s[40:41], s[34:35], vcc
	s_and_b64 s[40:41], s[40:41], s[2:3]
	s_waitcnt lgkmcnt(0)
	s_barrier
	s_and_saveexec_b64 s[2:3], s[40:41]
	s_cbranch_execz .LBB10_8
; %bb.14:                               ;   in Loop: Header=BB10_10 Depth=2
	v_lshlrev_b64 v[6:7], 3, v[1:2]
	v_mov_b32_e32 v1, s38
	v_add_co_u32_e32 v6, vcc, v4, v6
	v_addc_co_u32_e32 v7, vcc, v5, v7, vcc
	flat_load_dwordx2 v[6:7], v[6:7]
	ds_read_b64 v[14:15], v1
	ds_read_b64 v[16:17], v9
	s_waitcnt vmcnt(0) lgkmcnt(0)
	v_fma_f64 v[6:7], -v[6:7], v[14:15], v[16:17]
	ds_write_b64 v9, v[6:7]
	s_branch .LBB10_8
.LBB10_15:                              ;   in Loop: Header=BB10_5 Depth=1
	s_add_i32 s45, s36, 0xfffffe00
	s_cmp_lt_i32 s36, 1
	s_cselect_b64 s[2:3], -1, 0
	s_and_b64 vcc, exec, s[2:3]
	s_waitcnt lgkmcnt(0)
	s_barrier
	s_cbranch_vccnz .LBB10_47
; %bb.16:                               ;   in Loop: Header=BB10_5 Depth=1
	v_mad_i64_i32 v[3:4], s[34:35], v11, -8, s[26:27]
	s_mov_b64 s[34:35], 0
	v_mov_b32_e32 v1, v11
	v_mov_b32_e32 v14, v0
	s_mov_b32 s46, s45
                                        ; implicit-def: $sgpr36_sgpr37
	s_branch .LBB10_19
.LBB10_17:                              ;   in Loop: Header=BB10_19 Depth=2
	v_mad_u64_u32 v[7:8], s[40:41], s6, v15, 0
	s_add_i32 s42, s46, 0xfffffe00
	s_cmp_lt_i32 s46, 1
	v_mad_u64_u32 v[15:16], s[40:41], s7, v15, v[8:9]
	v_mov_b32_e32 v16, s33
	s_cselect_b64 s[40:41], -1, 0
	v_mov_b32_e32 v8, v15
	v_lshlrev_b64 v[7:8], 3, v[7:8]
	s_andn2_b64 s[36:37], s[36:37], exec
	v_add_co_u32_e32 v7, vcc, s8, v7
	v_addc_co_u32_e32 v8, vcc, v16, v8, vcc
	flat_load_dwordx2 v[15:16], v[7:8]
	v_add_co_u32_e32 v3, vcc, 0x1000, v3
	s_and_b64 s[40:41], s[40:41], exec
	v_add_u32_e32 v1, 0xfffffe00, v1
	v_addc_co_u32_e32 v4, vcc, 0, v4, vcc
	s_or_b64 s[36:37], s[36:37], s[40:41]
	s_mov_b32 s46, s42
	s_waitcnt vmcnt(0) lgkmcnt(0)
	v_add_f64 v[5:6], v[15:16], -v[5:6]
	flat_store_dwordx2 v[7:8], v[5:6]
.LBB10_18:                              ;   in Loop: Header=BB10_19 Depth=2
	s_or_b64 exec, exec, s[38:39]
	s_and_b64 s[38:39], exec, s[36:37]
	s_or_b64 s[34:35], s[38:39], s[34:35]
	s_andn2_b64 exec, exec, s[34:35]
	s_cbranch_execz .LBB10_46
.LBB10_19:                              ;   Parent Loop BB10_5 Depth=1
                                        ; =>  This Loop Header: Depth=2
                                        ;       Child Loop BB10_22 Depth 3
	v_add_u32_e32 v15, s46, v0
	v_cmp_lt_i32_e32 vcc, -1, v15
	s_or_b64 s[36:37], s[36:37], exec
	s_and_saveexec_b64 s[38:39], vcc
	s_cbranch_execz .LBB10_18
; %bb.20:                               ;   in Loop: Header=BB10_19 Depth=2
	v_mad_u64_u32 v[7:8], s[40:41], s28, v1, v[3:4]
	v_add_u32_e32 v16, s10, v15
	v_add_u32_e32 v17, 0xfffffdfd, v14
	v_mov_b32_e32 v5, v8
	v_mad_u64_u32 v[5:6], s[40:41], s29, v1, v[5:6]
	v_add_u32_e32 v18, 0xfffffdfe, v14
	v_add_u32_e32 v19, 0xfffffdff, v14
	v_mov_b32_e32 v8, v5
	v_mov_b32_e32 v5, 0
	v_add_u32_e32 v14, 0xfffffe00, v14
	v_mov_b32_e32 v6, 0
	s_mov_b32 s47, 0
	s_movk_i32 s48, 0x3000
	s_branch .LBB10_22
.LBB10_21:                              ;   in Loop: Header=BB10_22 Depth=3
	s_or_b64 exec, exec, s[40:41]
	s_add_i32 s47, s47, 4
	s_add_i32 s48, s48, 32
	v_add_co_u32_e32 v7, vcc, 32, v7
	s_cmpk_eq_i32 s47, 0x200
	v_addc_co_u32_e32 v8, vcc, 0, v8, vcc
	s_cbranch_scc1 .LBB10_17
.LBB10_22:                              ;   Parent Loop BB10_5 Depth=1
                                        ;     Parent Loop BB10_19 Depth=2
                                        ; =>    This Inner Loop Header: Depth=3
	v_cmp_ne_u32_e32 vcc, s47, v14
	s_add_i32 s49, s44, s47
	s_or_b64 s[40:41], s[30:31], vcc
	s_and_saveexec_b64 s[42:43], s[40:41]
	s_xor_b64 s[40:41], exec, s[42:43]
	s_cbranch_execz .LBB10_26
; %bb.23:                               ;   in Loop: Header=BB10_22 Depth=3
	s_add_i32 s42, s49, 0xfffffe00
	v_cmp_le_i32_e32 vcc, s42, v16
	s_and_saveexec_b64 s[42:43], vcc
	s_cbranch_execz .LBB10_25
; %bb.24:                               ;   in Loop: Header=BB10_22 Depth=3
	flat_load_dwordx2 v[20:21], v[7:8]
	v_mov_b32_e32 v22, s48
	ds_read_b64 v[22:23], v22
	s_waitcnt vmcnt(0) lgkmcnt(0)
	v_fma_f64 v[5:6], v[20:21], v[22:23], v[5:6]
.LBB10_25:                              ;   in Loop: Header=BB10_22 Depth=3
	s_or_b64 exec, exec, s[42:43]
.LBB10_26:                              ;   in Loop: Header=BB10_22 Depth=3
	s_andn2_saveexec_b64 s[40:41], s[40:41]
	s_cbranch_execz .LBB10_28
; %bb.27:                               ;   in Loop: Header=BB10_22 Depth=3
	v_mov_b32_e32 v20, s48
	ds_read_b64 v[20:21], v20
	s_waitcnt lgkmcnt(0)
	v_add_f64 v[5:6], v[5:6], v[20:21]
.LBB10_28:                              ;   in Loop: Header=BB10_22 Depth=3
	s_or_b64 exec, exec, s[40:41]
	v_cmp_ne_u32_e32 vcc, s47, v19
	s_or_b64 s[40:41], s[30:31], vcc
	s_and_saveexec_b64 s[42:43], s[40:41]
	s_xor_b64 s[40:41], exec, s[42:43]
	s_cbranch_execz .LBB10_32
; %bb.29:                               ;   in Loop: Header=BB10_22 Depth=3
	s_add_i32 s42, s49, 0xfffffe01
	v_cmp_le_i32_e32 vcc, s42, v16
	s_and_saveexec_b64 s[42:43], vcc
	s_cbranch_execz .LBB10_31
; %bb.30:                               ;   in Loop: Header=BB10_22 Depth=3
	flat_load_dwordx2 v[20:21], v[7:8] offset:8
	v_mov_b32_e32 v22, s48
	ds_read_b64 v[22:23], v22 offset:8
	s_waitcnt vmcnt(0) lgkmcnt(0)
	v_fma_f64 v[5:6], v[20:21], v[22:23], v[5:6]
.LBB10_31:                              ;   in Loop: Header=BB10_22 Depth=3
	s_or_b64 exec, exec, s[42:43]
.LBB10_32:                              ;   in Loop: Header=BB10_22 Depth=3
	s_andn2_saveexec_b64 s[40:41], s[40:41]
	s_cbranch_execz .LBB10_34
; %bb.33:                               ;   in Loop: Header=BB10_22 Depth=3
	v_mov_b32_e32 v20, s48
	ds_read_b64 v[20:21], v20 offset:8
	s_waitcnt lgkmcnt(0)
	v_add_f64 v[5:6], v[5:6], v[20:21]
.LBB10_34:                              ;   in Loop: Header=BB10_22 Depth=3
	s_or_b64 exec, exec, s[40:41]
	v_cmp_ne_u32_e32 vcc, s47, v18
	s_or_b64 s[40:41], s[30:31], vcc
	s_and_saveexec_b64 s[42:43], s[40:41]
	s_xor_b64 s[40:41], exec, s[42:43]
	s_cbranch_execz .LBB10_38
; %bb.35:                               ;   in Loop: Header=BB10_22 Depth=3
	s_add_i32 s42, s49, 0xfffffe02
	v_cmp_le_i32_e32 vcc, s42, v16
	s_and_saveexec_b64 s[42:43], vcc
	s_cbranch_execz .LBB10_37
; %bb.36:                               ;   in Loop: Header=BB10_22 Depth=3
	flat_load_dwordx2 v[20:21], v[7:8] offset:16
	v_mov_b32_e32 v22, s48
	ds_read_b64 v[22:23], v22 offset:16
	s_waitcnt vmcnt(0) lgkmcnt(0)
	v_fma_f64 v[5:6], v[20:21], v[22:23], v[5:6]
.LBB10_37:                              ;   in Loop: Header=BB10_22 Depth=3
	s_or_b64 exec, exec, s[42:43]
.LBB10_38:                              ;   in Loop: Header=BB10_22 Depth=3
	s_andn2_saveexec_b64 s[40:41], s[40:41]
	s_cbranch_execz .LBB10_40
; %bb.39:                               ;   in Loop: Header=BB10_22 Depth=3
	v_mov_b32_e32 v20, s48
	ds_read_b64 v[20:21], v20 offset:16
	s_waitcnt lgkmcnt(0)
	v_add_f64 v[5:6], v[5:6], v[20:21]
.LBB10_40:                              ;   in Loop: Header=BB10_22 Depth=3
	s_or_b64 exec, exec, s[40:41]
	v_cmp_ne_u32_e32 vcc, s47, v17
	s_or_b64 s[40:41], s[30:31], vcc
	s_and_saveexec_b64 s[42:43], s[40:41]
	s_xor_b64 s[40:41], exec, s[42:43]
	s_cbranch_execz .LBB10_44
; %bb.41:                               ;   in Loop: Header=BB10_22 Depth=3
	s_addk_i32 s49, 0xfe03
	v_cmp_le_i32_e32 vcc, s49, v16
	s_and_saveexec_b64 s[42:43], vcc
	s_cbranch_execz .LBB10_43
; %bb.42:                               ;   in Loop: Header=BB10_22 Depth=3
	flat_load_dwordx2 v[20:21], v[7:8] offset:24
	v_mov_b32_e32 v22, s48
	ds_read_b64 v[22:23], v22 offset:24
	s_waitcnt vmcnt(0) lgkmcnt(0)
	v_fma_f64 v[5:6], v[20:21], v[22:23], v[5:6]
.LBB10_43:                              ;   in Loop: Header=BB10_22 Depth=3
	s_or_b64 exec, exec, s[42:43]
.LBB10_44:                              ;   in Loop: Header=BB10_22 Depth=3
	s_andn2_saveexec_b64 s[40:41], s[40:41]
	s_cbranch_execz .LBB10_21
; %bb.45:                               ;   in Loop: Header=BB10_22 Depth=3
	v_mov_b32_e32 v20, s48
	ds_read_b64 v[20:21], v20 offset:24
	s_waitcnt lgkmcnt(0)
	v_add_f64 v[5:6], v[5:6], v[20:21]
	s_branch .LBB10_21
.LBB10_46:                              ;   in Loop: Header=BB10_5 Depth=1
	s_or_b64 exec, exec, s[34:35]
.LBB10_47:                              ;   in Loop: Header=BB10_5 Depth=1
	s_and_saveexec_b64 s[34:35], s[0:1]
	s_cbranch_execz .LBB10_4
; %bb.48:                               ;   in Loop: Header=BB10_5 Depth=1
	v_mad_u64_u32 v[3:4], s[0:1], s6, v13, 0
	v_mov_b32_e32 v1, v4
	v_mad_u64_u32 v[4:5], s[0:1], s7, v13, v[1:2]
	ds_read_b64 v[5:6], v9
	v_mov_b32_e32 v1, s33
	v_lshlrev_b64 v[3:4], 3, v[3:4]
	v_add_co_u32_e32 v3, vcc, s8, v3
	v_addc_co_u32_e32 v4, vcc, v1, v4, vcc
	s_waitcnt lgkmcnt(0)
	flat_store_dwordx2 v[3:4], v[5:6]
	s_branch .LBB10_4
.LBB10_49:
	s_mov_b64 s[0:1], 0
.LBB10_50:
	s_andn2_b64 vcc, exec, s[0:1]
	s_cbranch_vccnz .LBB10_98
; %bb.51:
	s_andn2_b64 vcc, exec, s[22:23]
	s_cbranch_vccnz .LBB10_98
; %bb.52:
	s_lshl_b64 s[26:27], s[16:17], 3
	s_add_u32 s28, s26, -8
	s_addc_u32 s30, s27, -1
	s_ashr_i32 s11, s10, 31
	s_lshl_b64 s[0:1], s[10:11], 3
	s_add_u32 s2, s12, s0
	s_addc_u32 s3, s13, s1
	s_add_u32 s2, s2, s20
	s_addc_u32 s3, s3, s21
	v_mov_b32_e32 v1, s2
	v_mov_b32_e32 v2, s3
	v_mad_u64_u32 v[1:2], s[28:29], s28, v0, v[1:2]
	v_mov_b32_e32 v3, 0x1000
	v_lshl_or_b32 v11, v0, 3, v3
	v_mad_u64_u32 v[2:3], s[28:29], s30, v0, v[2:3]
	v_or_b32_e32 v12, 0x200, v0
	v_mad_u64_u32 v[3:4], s[28:29], s16, v12, 0
	s_lshl_b64 s[28:29], s[16:17], 12
	s_add_u32 s0, s20, s0
	v_mad_u64_u32 v[4:5], s[30:31], s17, v12, v[4:5]
	s_addc_u32 s1, s21, s1
	s_add_u32 s30, s12, s0
	s_addc_u32 s31, s13, s1
	v_lshlrev_b64 v[3:4], 3, v[3:4]
	s_add_u32 s11, s28, 0x1000
	s_addc_u32 s46, s29, 0
	v_mov_b32_e32 v5, s3
	v_add_co_u32_e32 v3, vcc, s2, v3
	s_add_u32 s47, s28, 0xfffff000
	v_addc_co_u32_e32 v4, vcc, v5, v4, vcc
	s_addc_u32 s48, s29, -1
	s_mov_b32 s49, 0
	s_xor_b64 s[34:35], s[18:19], -1
	s_branch .LBB10_54
.LBB10_53:                              ;   in Loop: Header=BB10_54 Depth=1
	s_or_b64 exec, exec, s[36:37]
	v_mov_b32_e32 v5, s29
	v_add_co_u32_e32 v1, vcc, s28, v1
	v_addc_co_u32_e32 v2, vcc, v2, v5, vcc
	v_mov_b32_e32 v5, s46
	v_add_co_u32_e32 v3, vcc, s11, v3
	s_add_u32 s30, s30, s28
	v_addc_co_u32_e32 v4, vcc, v4, v5, vcc
	s_addc_u32 s31, s31, s29
	v_add_u32_e32 v12, 0x200, v12
	s_and_b64 vcc, exec, s[2:3]
	s_mov_b32 s49, s50
	s_waitcnt vmcnt(0) lgkmcnt(0)
	s_barrier
	s_cbranch_vccnz .LBB10_98
.LBB10_54:                              ; =>This Loop Header: Depth=1
                                        ;     Child Loop BB10_59 Depth 2
                                        ;     Child Loop BB10_68 Depth 2
                                        ;       Child Loop BB10_71 Depth 3
	v_add_u32_e32 v13, s49, v0
	v_cmp_le_i32_e32 vcc, s9, v13
	v_cmp_gt_i32_e64 s[0:1], s9, v13
	s_and_saveexec_b64 s[36:37], s[0:1]
	s_cbranch_execz .LBB10_56
; %bb.55:                               ;   in Loop: Header=BB10_54 Depth=1
	v_mad_u64_u32 v[5:6], s[2:3], s6, v13, 0
	v_mad_u64_u32 v[6:7], s[2:3], s7, v13, v[6:7]
	v_mov_b32_e32 v7, s33
	v_lshlrev_b64 v[5:6], 3, v[5:6]
	v_add_co_u32_e64 v5, s[2:3], s8, v5
	v_addc_co_u32_e64 v6, s[2:3], v7, v6, s[2:3]
	flat_load_dwordx2 v[5:6], v[5:6]
	s_waitcnt vmcnt(0) lgkmcnt(0)
	ds_write_b64 v11, v[5:6]
.LBB10_56:                              ;   in Loop: Header=BB10_54 Depth=1
	s_or_b64 exec, exec, s[36:37]
	v_mov_b32_e32 v5, s30
	v_mov_b32_e32 v8, v2
	v_subrev_u32_e32 v9, s10, v13
	s_mov_b32 s38, 0
	s_movk_i32 s39, 0x1000
	v_mov_b32_e32 v6, s31
	s_xor_b64 s[36:37], vcc, -1
	v_mov_b32_e32 v7, v1
	s_waitcnt lgkmcnt(0)
	s_barrier
	s_branch .LBB10_59
.LBB10_57:                              ;   in Loop: Header=BB10_59 Depth=2
	s_or_b64 exec, exec, s[2:3]
	v_add_co_u32_e32 v7, vcc, 8, v7
	s_add_i32 s38, s38, 1
	s_add_i32 s39, s39, 8
	v_addc_co_u32_e32 v8, vcc, 0, v8, vcc
	v_mov_b32_e32 v10, s27
	v_add_co_u32_e32 v5, vcc, s26, v5
	s_cmpk_eq_i32 s38, 0x200
	v_addc_co_u32_e32 v6, vcc, v6, v10, vcc
	s_cselect_b64 s[2:3], -1, 0
.LBB10_58:                              ;   in Loop: Header=BB10_59 Depth=2
	s_and_b64 vcc, exec, s[2:3]
	s_cbranch_vccnz .LBB10_64
.LBB10_59:                              ;   Parent Loop BB10_54 Depth=1
                                        ; =>  This Inner Loop Header: Depth=2
	s_add_i32 s40, s49, s38
	s_cmp_ge_i32 s40, s9
	s_mov_b64 s[2:3], -1
	s_cbranch_scc1 .LBB10_58
; %bb.60:                               ;   in Loop: Header=BB10_59 Depth=2
	v_cmp_eq_u32_e32 vcc, s38, v0
	s_and_b64 s[42:43], s[34:35], vcc
	s_and_saveexec_b64 s[2:3], s[42:43]
	s_cbranch_execz .LBB10_62
; %bb.61:                               ;   in Loop: Header=BB10_59 Depth=2
	flat_load_dwordx2 v[14:15], v[5:6]
	ds_read_b64 v[16:17], v11
	s_waitcnt vmcnt(0) lgkmcnt(0)
	v_div_scale_f64 v[18:19], s[42:43], v[14:15], v[14:15], v[16:17]
	v_div_scale_f64 v[24:25], vcc, v[16:17], v[14:15], v[16:17]
	v_rcp_f64_e32 v[20:21], v[18:19]
	v_fma_f64 v[22:23], -v[18:19], v[20:21], 1.0
	v_fma_f64 v[20:21], v[20:21], v[22:23], v[20:21]
	v_fma_f64 v[22:23], -v[18:19], v[20:21], 1.0
	v_fma_f64 v[20:21], v[20:21], v[22:23], v[20:21]
	v_mul_f64 v[22:23], v[24:25], v[20:21]
	v_fma_f64 v[18:19], -v[18:19], v[22:23], v[24:25]
	v_div_fmas_f64 v[18:19], v[18:19], v[20:21], v[22:23]
	v_div_fixup_f64 v[14:15], v[18:19], v[14:15], v[16:17]
	ds_write_b64 v11, v[14:15]
.LBB10_62:                              ;   in Loop: Header=BB10_59 Depth=2
	s_or_b64 exec, exec, s[2:3]
	v_cmp_lt_u32_e32 vcc, s38, v0
	v_cmp_ge_i32_e64 s[2:3], s40, v9
	s_and_b64 s[40:41], s[36:37], vcc
	s_and_b64 s[40:41], s[40:41], s[2:3]
	s_waitcnt lgkmcnt(0)
	s_barrier
	s_and_saveexec_b64 s[2:3], s[40:41]
	s_cbranch_execz .LBB10_57
; %bb.63:                               ;   in Loop: Header=BB10_59 Depth=2
	flat_load_dwordx2 v[14:15], v[7:8]
	v_mov_b32_e32 v10, s39
	ds_read_b64 v[16:17], v10
	ds_read_b64 v[18:19], v11
	s_waitcnt vmcnt(0) lgkmcnt(0)
	v_fma_f64 v[14:15], -v[14:15], v[16:17], v[18:19]
	ds_write_b64 v11, v[14:15]
	s_branch .LBB10_57
.LBB10_64:                              ;   in Loop: Header=BB10_54 Depth=1
	s_add_i32 s50, s49, 0x200
	s_cmp_ge_i32 s50, s9
	s_cselect_b64 s[2:3], -1, 0
	s_and_b64 vcc, exec, s[2:3]
	s_waitcnt lgkmcnt(0)
	s_barrier
	s_cbranch_vccnz .LBB10_96
; %bb.65:                               ;   in Loop: Header=BB10_54 Depth=1
	v_mad_i64_i32 v[5:6], s[36:37], v12, -8, v[3:4]
	s_mov_b64 s[36:37], 0
	v_mov_b32_e32 v14, v0
	s_mov_b32 s51, s50
                                        ; implicit-def: $sgpr38_sgpr39
	s_branch .LBB10_68
.LBB10_66:                              ;   in Loop: Header=BB10_68 Depth=2
	v_mad_u64_u32 v[9:10], s[42:43], s6, v15, 0
	s_addk_i32 s51, 0x200
	s_cmp_ge_i32 s51, s9
	v_mad_u64_u32 v[15:16], s[42:43], s7, v15, v[10:11]
	v_mov_b32_e32 v16, s33
	s_cselect_b64 s[42:43], -1, 0
	v_mov_b32_e32 v10, v15
	v_lshlrev_b64 v[9:10], 3, v[9:10]
	v_mov_b32_e32 v17, s48
	v_add_co_u32_e32 v9, vcc, s8, v9
	v_addc_co_u32_e32 v10, vcc, v16, v10, vcc
	flat_load_dwordx2 v[15:16], v[9:10]
	v_add_co_u32_e32 v5, vcc, s47, v5
	s_andn2_b64 s[38:39], s[38:39], exec
	s_and_b64 s[42:43], s[42:43], exec
	v_addc_co_u32_e32 v6, vcc, v6, v17, vcc
	s_or_b64 s[38:39], s[38:39], s[42:43]
	s_waitcnt vmcnt(0) lgkmcnt(0)
	v_add_f64 v[7:8], v[15:16], -v[7:8]
	flat_store_dwordx2 v[9:10], v[7:8]
.LBB10_67:                              ;   in Loop: Header=BB10_68 Depth=2
	s_or_b64 exec, exec, s[40:41]
	s_and_b64 s[40:41], exec, s[38:39]
	s_or_b64 s[36:37], s[40:41], s[36:37]
	s_andn2_b64 exec, exec, s[36:37]
	s_cbranch_execz .LBB10_95
.LBB10_68:                              ;   Parent Loop BB10_54 Depth=1
                                        ; =>  This Loop Header: Depth=2
                                        ;       Child Loop BB10_71 Depth 3
	v_add_u32_e32 v15, s51, v0
	v_cmp_gt_i32_e32 vcc, s9, v15
	s_or_b64 s[38:39], s[38:39], exec
	s_and_saveexec_b64 s[40:41], vcc
	s_cbranch_execz .LBB10_67
; %bb.69:                               ;   in Loop: Header=BB10_68 Depth=2
	v_mov_b32_e32 v7, 0
	v_mov_b32_e32 v10, v6
	v_subrev_u32_e32 v16, s10, v15
	v_add_u32_e32 v17, 0x1fd, v14
	v_add_u32_e32 v18, 0x1fe, v14
	;; [unrolled: 1-line block ×4, first 2 shown]
	v_mov_b32_e32 v8, 0
	s_mov_b32 s52, 0
	s_movk_i32 s53, 0x1000
	v_mov_b32_e32 v9, v5
	s_branch .LBB10_71
.LBB10_70:                              ;   in Loop: Header=BB10_71 Depth=3
	s_or_b64 exec, exec, s[42:43]
	s_add_i32 s52, s52, 4
	s_add_i32 s53, s53, 32
	v_add_co_u32_e32 v9, vcc, 32, v9
	s_cmpk_eq_i32 s52, 0x200
	v_addc_co_u32_e32 v10, vcc, 0, v10, vcc
	s_cbranch_scc1 .LBB10_66
.LBB10_71:                              ;   Parent Loop BB10_54 Depth=1
                                        ;     Parent Loop BB10_68 Depth=2
                                        ; =>    This Inner Loop Header: Depth=3
	v_cmp_ne_u32_e32 vcc, s52, v14
	s_add_i32 s54, s49, s52
	s_or_b64 s[42:43], s[34:35], vcc
	s_and_saveexec_b64 s[44:45], s[42:43]
	s_xor_b64 s[42:43], exec, s[44:45]
	s_cbranch_execz .LBB10_75
; %bb.72:                               ;   in Loop: Header=BB10_71 Depth=3
	s_cmp_lt_i32 s54, s9
	s_cselect_b64 s[44:45], -1, 0
	v_cmp_ge_i32_e32 vcc, s54, v16
	s_and_b64 s[56:57], s[44:45], vcc
	s_and_saveexec_b64 s[44:45], s[56:57]
	s_cbranch_execz .LBB10_74
; %bb.73:                               ;   in Loop: Header=BB10_71 Depth=3
	flat_load_dwordx2 v[20:21], v[9:10]
	v_mov_b32_e32 v22, s53
	ds_read_b64 v[22:23], v22
	s_waitcnt vmcnt(0) lgkmcnt(0)
	v_fma_f64 v[7:8], v[20:21], v[22:23], v[7:8]
.LBB10_74:                              ;   in Loop: Header=BB10_71 Depth=3
	s_or_b64 exec, exec, s[44:45]
.LBB10_75:                              ;   in Loop: Header=BB10_71 Depth=3
	s_andn2_saveexec_b64 s[42:43], s[42:43]
	s_cbranch_execz .LBB10_77
; %bb.76:                               ;   in Loop: Header=BB10_71 Depth=3
	v_mov_b32_e32 v20, s53
	ds_read_b64 v[20:21], v20
	s_waitcnt lgkmcnt(0)
	v_add_f64 v[7:8], v[7:8], v[20:21]
.LBB10_77:                              ;   in Loop: Header=BB10_71 Depth=3
	s_or_b64 exec, exec, s[42:43]
	v_cmp_ne_u32_e32 vcc, s52, v19
	s_or_b64 s[42:43], s[34:35], vcc
	s_and_saveexec_b64 s[44:45], s[42:43]
	s_xor_b64 s[42:43], exec, s[44:45]
	s_cbranch_execz .LBB10_81
; %bb.78:                               ;   in Loop: Header=BB10_71 Depth=3
	s_add_i32 s55, s54, 1
	s_cmp_lt_i32 s55, s9
	s_cselect_b64 s[44:45], -1, 0
	v_cmp_ge_i32_e32 vcc, s55, v16
	s_and_b64 s[56:57], s[44:45], vcc
	s_and_saveexec_b64 s[44:45], s[56:57]
	s_cbranch_execz .LBB10_80
; %bb.79:                               ;   in Loop: Header=BB10_71 Depth=3
	flat_load_dwordx2 v[20:21], v[9:10] offset:8
	v_mov_b32_e32 v22, s53
	ds_read_b64 v[22:23], v22 offset:8
	s_waitcnt vmcnt(0) lgkmcnt(0)
	v_fma_f64 v[7:8], v[20:21], v[22:23], v[7:8]
.LBB10_80:                              ;   in Loop: Header=BB10_71 Depth=3
	s_or_b64 exec, exec, s[44:45]
.LBB10_81:                              ;   in Loop: Header=BB10_71 Depth=3
	s_andn2_saveexec_b64 s[42:43], s[42:43]
	s_cbranch_execz .LBB10_83
; %bb.82:                               ;   in Loop: Header=BB10_71 Depth=3
	v_mov_b32_e32 v20, s53
	ds_read_b64 v[20:21], v20 offset:8
	s_waitcnt lgkmcnt(0)
	v_add_f64 v[7:8], v[7:8], v[20:21]
.LBB10_83:                              ;   in Loop: Header=BB10_71 Depth=3
	s_or_b64 exec, exec, s[42:43]
	v_cmp_ne_u32_e32 vcc, s52, v18
	s_or_b64 s[42:43], s[34:35], vcc
	s_and_saveexec_b64 s[44:45], s[42:43]
	s_xor_b64 s[42:43], exec, s[44:45]
	s_cbranch_execz .LBB10_87
; %bb.84:                               ;   in Loop: Header=BB10_71 Depth=3
	s_add_i32 s55, s54, 2
	s_cmp_lt_i32 s55, s9
	s_cselect_b64 s[44:45], -1, 0
	v_cmp_ge_i32_e32 vcc, s55, v16
	s_and_b64 s[56:57], s[44:45], vcc
	s_and_saveexec_b64 s[44:45], s[56:57]
	s_cbranch_execz .LBB10_86
; %bb.85:                               ;   in Loop: Header=BB10_71 Depth=3
	flat_load_dwordx2 v[20:21], v[9:10] offset:16
	v_mov_b32_e32 v22, s53
	ds_read_b64 v[22:23], v22 offset:16
	s_waitcnt vmcnt(0) lgkmcnt(0)
	v_fma_f64 v[7:8], v[20:21], v[22:23], v[7:8]
.LBB10_86:                              ;   in Loop: Header=BB10_71 Depth=3
	s_or_b64 exec, exec, s[44:45]
.LBB10_87:                              ;   in Loop: Header=BB10_71 Depth=3
	s_andn2_saveexec_b64 s[42:43], s[42:43]
	s_cbranch_execz .LBB10_89
; %bb.88:                               ;   in Loop: Header=BB10_71 Depth=3
	v_mov_b32_e32 v20, s53
	ds_read_b64 v[20:21], v20 offset:16
	s_waitcnt lgkmcnt(0)
	v_add_f64 v[7:8], v[7:8], v[20:21]
.LBB10_89:                              ;   in Loop: Header=BB10_71 Depth=3
	s_or_b64 exec, exec, s[42:43]
	v_cmp_ne_u32_e32 vcc, s52, v17
	s_or_b64 s[42:43], s[34:35], vcc
	s_and_saveexec_b64 s[44:45], s[42:43]
	s_xor_b64 s[42:43], exec, s[44:45]
	s_cbranch_execz .LBB10_93
; %bb.90:                               ;   in Loop: Header=BB10_71 Depth=3
	s_add_i32 s54, s54, 3
	s_cmp_lt_i32 s54, s9
	s_cselect_b64 s[44:45], -1, 0
	v_cmp_ge_i32_e32 vcc, s54, v16
	s_and_b64 s[54:55], s[44:45], vcc
	s_and_saveexec_b64 s[44:45], s[54:55]
	s_cbranch_execz .LBB10_92
; %bb.91:                               ;   in Loop: Header=BB10_71 Depth=3
	flat_load_dwordx2 v[20:21], v[9:10] offset:24
	v_mov_b32_e32 v22, s53
	ds_read_b64 v[22:23], v22 offset:24
	s_waitcnt vmcnt(0) lgkmcnt(0)
	v_fma_f64 v[7:8], v[20:21], v[22:23], v[7:8]
.LBB10_92:                              ;   in Loop: Header=BB10_71 Depth=3
	s_or_b64 exec, exec, s[44:45]
.LBB10_93:                              ;   in Loop: Header=BB10_71 Depth=3
	s_andn2_saveexec_b64 s[42:43], s[42:43]
	s_cbranch_execz .LBB10_70
; %bb.94:                               ;   in Loop: Header=BB10_71 Depth=3
	v_mov_b32_e32 v20, s53
	ds_read_b64 v[20:21], v20 offset:24
	s_waitcnt lgkmcnt(0)
	v_add_f64 v[7:8], v[7:8], v[20:21]
	s_branch .LBB10_70
.LBB10_95:                              ;   in Loop: Header=BB10_54 Depth=1
	s_or_b64 exec, exec, s[36:37]
.LBB10_96:                              ;   in Loop: Header=BB10_54 Depth=1
	s_and_saveexec_b64 s[36:37], s[0:1]
	s_cbranch_execz .LBB10_53
; %bb.97:                               ;   in Loop: Header=BB10_54 Depth=1
	v_mad_u64_u32 v[5:6], s[0:1], s6, v13, 0
	v_mov_b32_e32 v9, s33
	v_mad_u64_u32 v[6:7], s[0:1], s7, v13, v[6:7]
	ds_read_b64 v[7:8], v11
	v_lshlrev_b64 v[5:6], 3, v[5:6]
	v_add_co_u32_e32 v5, vcc, s8, v5
	v_addc_co_u32_e32 v6, vcc, v9, v6, vcc
	s_waitcnt lgkmcnt(0)
	flat_store_dwordx2 v[5:6], v[7:8]
	s_branch .LBB10_53
.LBB10_98:
	s_mov_b64 s[0:1], 0
.LBB10_99:
	s_andn2_b64 vcc, exec, s[0:1]
	s_cbranch_vccnz .LBB10_173
; %bb.100:
	s_mov_b64 s[0:1], -1
	s_and_b64 vcc, exec, s[24:25]
	s_cbranch_vccz .LBB10_137
; %bb.101:
	s_andn2_b64 vcc, exec, s[22:23]
	s_cbranch_vccnz .LBB10_136
; %bb.102:
	s_lshl_b64 s[24:25], s[16:17], 12
	s_lshl_b64 s[26:27], s[16:17], 3
	s_add_u32 s28, s12, s26
	s_addc_u32 s29, s13, s27
	s_lshl_b64 s[0:1], s[16:17], 4
	s_add_u32 s11, s0, -16
	v_lshlrev_b32_e32 v9, 3, v0
	v_or_b32_e32 v10, 0x200, v0
	s_addc_u32 s58, s1, -1
	s_mov_b32 s59, 0
	s_mov_b64 s[30:31], -1
	s_mov_b64 s[34:35], 0
	s_xor_b64 s[36:37], s[18:19], -1
	v_mov_b32_e32 v2, 0
	s_mov_b64 s[38:39], 0
	s_mov_b64 s[40:41], s[4:5]
	s_branch .LBB10_104
.LBB10_103:                             ;   in Loop: Header=BB10_104 Depth=1
	s_or_b64 exec, exec, s[42:43]
	s_add_u32 s40, s40, s24
	s_addc_u32 s41, s41, s25
	s_add_u32 s30, s30, 0xfffffe00
	s_addc_u32 s31, s31, -1
	s_add_u32 s38, s38, s24
	s_addc_u32 s39, s39, s25
	s_add_u32 s34, s34, 0xfffffe00
	v_add_u32_e32 v10, 0x200, v10
	s_addc_u32 s35, s35, -1
	s_and_b64 vcc, exec, s[2:3]
	s_mov_b32 s59, s60
	s_waitcnt vmcnt(0) lgkmcnt(0)
	s_barrier
	s_cbranch_vccnz .LBB10_136
.LBB10_104:                             ; =>This Loop Header: Depth=1
                                        ;     Child Loop BB10_108 Depth 2
                                        ;     Child Loop BB10_118 Depth 2
                                        ;       Child Loop BB10_121 Depth 3
	v_add_u32_e32 v11, s59, v0
	v_cmp_le_i32_e32 vcc, s9, v11
	v_cmp_gt_i32_e64 s[0:1], s9, v11
	s_and_saveexec_b64 s[42:43], s[0:1]
	s_cbranch_execz .LBB10_106
; %bb.105:                              ;   in Loop: Header=BB10_104 Depth=1
	v_mad_u64_u32 v[3:4], s[2:3], s6, v11, 0
	v_mov_b32_e32 v1, v4
	v_mad_u64_u32 v[4:5], s[2:3], s7, v11, v[1:2]
	v_mov_b32_e32 v1, s33
	v_lshlrev_b64 v[3:4], 3, v[3:4]
	v_add_co_u32_e64 v3, s[2:3], s8, v3
	v_addc_co_u32_e64 v4, s[2:3], v1, v4, s[2:3]
	flat_load_dwordx2 v[3:4], v[3:4]
	s_waitcnt vmcnt(0) lgkmcnt(0)
	ds_write_b64 v9, v[3:4]
.LBB10_106:                             ;   in Loop: Header=BB10_104 Depth=1
	s_or_b64 exec, exec, s[42:43]
	v_subrev_u32_e32 v3, s10, v11
	s_mov_b32 s46, 0
	s_xor_b64 s[42:43], vcc, -1
	s_mov_b64 s[44:45], s[40:41]
	v_mov_b32_e32 v1, v0
	s_mov_b32 s47, 0
	s_waitcnt lgkmcnt(0)
	s_barrier
	s_branch .LBB10_108
.LBB10_107:                             ;   in Loop: Header=BB10_108 Depth=2
	s_or_b64 exec, exec, s[2:3]
	s_add_i32 s47, s47, 1
	s_add_i32 s46, s46, 8
	s_add_u32 s44, s44, s26
	s_addc_u32 s45, s45, s27
	s_cmpk_eq_i32 s47, 0x200
	v_add_u32_e32 v1, -1, v1
	s_cselect_b64 s[2:3], -1, 0
	s_and_b64 vcc, exec, s[2:3]
	s_cbranch_vccnz .LBB10_114
.LBB10_108:                             ;   Parent Loop BB10_104 Depth=1
                                        ; =>  This Inner Loop Header: Depth=2
	s_add_i32 s48, s59, s47
	s_cmp_ge_i32 s48, s9
	s_cbranch_scc1 .LBB10_113
; %bb.109:                              ;   in Loop: Header=BB10_108 Depth=2
	v_cmp_eq_u32_e32 vcc, s47, v0
	s_and_b64 s[50:51], s[36:37], vcc
	s_and_saveexec_b64 s[2:3], s[50:51]
	s_cbranch_execz .LBB10_111
; %bb.110:                              ;   in Loop: Header=BB10_108 Depth=2
	v_mov_b32_e32 v4, s44
	v_mov_b32_e32 v5, s45
	flat_load_dwordx2 v[4:5], v[4:5]
	ds_read_b64 v[6:7], v9
	s_waitcnt vmcnt(0) lgkmcnt(0)
	v_div_scale_f64 v[12:13], s[50:51], v[4:5], v[4:5], v[6:7]
	v_div_scale_f64 v[18:19], vcc, v[6:7], v[4:5], v[6:7]
	v_rcp_f64_e32 v[14:15], v[12:13]
	v_fma_f64 v[16:17], -v[12:13], v[14:15], 1.0
	v_fma_f64 v[14:15], v[14:15], v[16:17], v[14:15]
	v_fma_f64 v[16:17], -v[12:13], v[14:15], 1.0
	v_fma_f64 v[14:15], v[14:15], v[16:17], v[14:15]
	v_mul_f64 v[16:17], v[18:19], v[14:15]
	v_fma_f64 v[12:13], -v[12:13], v[16:17], v[18:19]
	v_div_fmas_f64 v[12:13], v[12:13], v[14:15], v[16:17]
	v_div_fixup_f64 v[4:5], v[12:13], v[4:5], v[6:7]
	ds_write_b64 v9, v[4:5]
.LBB10_111:                             ;   in Loop: Header=BB10_108 Depth=2
	s_or_b64 exec, exec, s[2:3]
	v_cmp_lt_u32_e32 vcc, s47, v0
	v_cmp_ge_i32_e64 s[2:3], s48, v3
	s_and_b64 s[48:49], s[42:43], vcc
	s_and_b64 s[48:49], s[48:49], s[2:3]
	s_waitcnt lgkmcnt(0)
	s_barrier
	s_and_saveexec_b64 s[2:3], s[48:49]
	s_cbranch_execz .LBB10_107
; %bb.112:                              ;   in Loop: Header=BB10_108 Depth=2
	v_lshlrev_b64 v[4:5], 3, v[1:2]
	v_mov_b32_e32 v6, s45
	v_add_co_u32_e32 v4, vcc, s44, v4
	v_addc_co_u32_e32 v5, vcc, v6, v5, vcc
	flat_load_dwordx2 v[4:5], v[4:5]
	v_mov_b32_e32 v6, s46
	ds_read_b64 v[6:7], v6
	ds_read_b64 v[12:13], v9
	s_waitcnt vmcnt(0) lgkmcnt(0)
	v_fma_f64 v[4:5], -v[4:5], v[6:7], v[12:13]
	ds_write_b64 v9, v[4:5]
	s_branch .LBB10_107
.LBB10_113:                             ;   in Loop: Header=BB10_108 Depth=2
                                        ; implicit-def: $sgpr47
                                        ; implicit-def: $sgpr46
                                        ; implicit-def: $sgpr44_sgpr45
	s_cbranch_execz .LBB10_108
.LBB10_114:                             ;   in Loop: Header=BB10_104 Depth=1
	s_add_i32 s60, s59, 0x200
	s_cmp_ge_i32 s60, s9
	s_cselect_b64 s[2:3], -1, 0
	s_and_b64 vcc, exec, s[2:3]
	s_waitcnt lgkmcnt(0)
	s_barrier
	s_cbranch_vccnz .LBB10_134
; %bb.115:                              ;   in Loop: Header=BB10_104 Depth=1
	v_ashrrev_i32_e32 v1, 31, v10
	v_mov_b32_e32 v4, s31
	v_add_co_u32_e32 v3, vcc, s30, v10
	v_addc_co_u32_e32 v4, vcc, v4, v1, vcc
	v_mov_b32_e32 v6, s35
	v_add_co_u32_e32 v5, vcc, s34, v10
	v_addc_co_u32_e32 v6, vcc, v6, v1, vcc
	v_lshlrev_b64 v[3:4], 3, v[3:4]
	v_lshlrev_b64 v[5:6], 3, v[5:6]
	s_mov_b64 s[42:43], 0
	s_mov_b64 s[44:45], s[38:39]
	v_mov_b32_e32 v1, v0
	s_mov_b32 s61, s60
                                        ; implicit-def: $sgpr46_sgpr47
	s_branch .LBB10_118
.LBB10_116:                             ;   in Loop: Header=BB10_118 Depth=2
	v_mad_u64_u32 v[13:14], s[50:51], s6, v12, 0
	s_addk_i32 s61, 0x200
	s_add_u32 s44, s44, 0x1000
	v_mad_u64_u32 v[14:15], s[50:51], s7, v12, v[14:15]
	v_mov_b32_e32 v15, s33
	s_addc_u32 s45, s45, 0
	v_lshlrev_b64 v[12:13], 3, v[13:14]
	s_cmp_ge_i32 s61, s9
	v_add_co_u32_e32 v12, vcc, s8, v12
	v_addc_co_u32_e32 v13, vcc, v15, v13, vcc
	flat_load_dwordx2 v[14:15], v[12:13]
	s_cselect_b64 s[50:51], -1, 0
	s_andn2_b64 s[46:47], s[46:47], exec
	s_and_b64 s[50:51], s[50:51], exec
	s_or_b64 s[46:47], s[46:47], s[50:51]
	s_waitcnt vmcnt(0) lgkmcnt(0)
	v_add_f64 v[7:8], v[14:15], -v[7:8]
	flat_store_dwordx2 v[12:13], v[7:8]
.LBB10_117:                             ;   in Loop: Header=BB10_118 Depth=2
	s_or_b64 exec, exec, s[48:49]
	s_and_b64 s[48:49], exec, s[46:47]
	s_or_b64 s[42:43], s[48:49], s[42:43]
	s_andn2_b64 exec, exec, s[42:43]
	s_cbranch_execz .LBB10_133
.LBB10_118:                             ;   Parent Loop BB10_104 Depth=1
                                        ; =>  This Loop Header: Depth=2
                                        ;       Child Loop BB10_121 Depth 3
	v_add_u32_e32 v12, s61, v0
	v_cmp_gt_i32_e32 vcc, s9, v12
	s_or_b64 s[46:47], s[46:47], exec
	s_and_saveexec_b64 s[48:49], vcc
	s_cbranch_execz .LBB10_117
; %bb.119:                              ;   in Loop: Header=BB10_118 Depth=2
	v_mov_b32_e32 v7, 0
	v_subrev_u32_e32 v13, s10, v12
	v_add_u32_e32 v14, 0x1ff, v1
	v_add_u32_e32 v1, 0x200, v1
	v_mov_b32_e32 v8, 0
	s_mov_b32 s62, 0
	s_mov_b64 s[50:51], s[12:13]
	s_mov_b64 s[52:53], s[28:29]
	s_mov_b32 s63, 0
	s_branch .LBB10_121
.LBB10_120:                             ;   in Loop: Header=BB10_121 Depth=3
	s_or_b64 exec, exec, s[54:55]
	s_add_i32 s63, s63, 2
	s_add_u32 s52, s52, s11
	s_addc_u32 s53, s53, s58
	s_add_i32 s62, s62, 16
	s_add_u32 s50, s50, s11
	s_addc_u32 s51, s51, s58
	s_cmpk_eq_i32 s63, 0x200
	s_cbranch_scc1 .LBB10_116
.LBB10_121:                             ;   Parent Loop BB10_104 Depth=1
                                        ;     Parent Loop BB10_118 Depth=2
                                        ; =>    This Inner Loop Header: Depth=3
	v_cmp_ne_u32_e32 vcc, s63, v1
	s_add_i32 s64, s59, s63
	s_or_b64 s[54:55], s[36:37], vcc
	s_and_saveexec_b64 s[56:57], s[54:55]
	s_xor_b64 s[54:55], exec, s[56:57]
	s_cbranch_execz .LBB10_125
; %bb.122:                              ;   in Loop: Header=BB10_121 Depth=3
	s_cmp_lt_i32 s64, s9
	s_cselect_b64 s[56:57], -1, 0
	v_cmp_ge_i32_e32 vcc, s64, v13
	s_and_b64 s[66:67], s[56:57], vcc
	s_and_saveexec_b64 s[56:57], s[66:67]
	s_cbranch_execz .LBB10_124
; %bb.123:                              ;   in Loop: Header=BB10_121 Depth=3
	s_add_u32 s65, s50, s20
	s_addc_u32 s66, s51, s21
	v_mov_b32_e32 v15, s66
	v_add_co_u32_e32 v16, vcc, s65, v5
	v_addc_co_u32_e32 v17, vcc, v15, v6, vcc
	v_mov_b32_e32 v18, s45
	v_add_co_u32_e32 v15, vcc, s44, v16
	v_addc_co_u32_e32 v16, vcc, v17, v18, vcc
	flat_load_dwordx2 v[15:16], v[15:16]
	v_mov_b32_e32 v17, s62
	ds_read_b64 v[17:18], v17
	s_waitcnt vmcnt(0) lgkmcnt(0)
	v_fma_f64 v[7:8], v[15:16], v[17:18], v[7:8]
.LBB10_124:                             ;   in Loop: Header=BB10_121 Depth=3
	s_or_b64 exec, exec, s[56:57]
.LBB10_125:                             ;   in Loop: Header=BB10_121 Depth=3
	s_andn2_saveexec_b64 s[54:55], s[54:55]
	s_cbranch_execz .LBB10_127
; %bb.126:                              ;   in Loop: Header=BB10_121 Depth=3
	v_mov_b32_e32 v15, s62
	ds_read_b64 v[15:16], v15
	s_waitcnt lgkmcnt(0)
	v_add_f64 v[7:8], v[7:8], v[15:16]
.LBB10_127:                             ;   in Loop: Header=BB10_121 Depth=3
	s_or_b64 exec, exec, s[54:55]
	v_cmp_ne_u32_e32 vcc, s63, v14
	s_or_b64 s[54:55], s[36:37], vcc
	s_and_saveexec_b64 s[56:57], s[54:55]
	s_xor_b64 s[54:55], exec, s[56:57]
	s_cbranch_execz .LBB10_131
; %bb.128:                              ;   in Loop: Header=BB10_121 Depth=3
	s_add_i32 s64, s64, 1
	s_cmp_lt_i32 s64, s9
	s_cselect_b64 s[56:57], -1, 0
	v_cmp_ge_i32_e32 vcc, s64, v13
	s_and_b64 s[64:65], s[56:57], vcc
	s_and_saveexec_b64 s[56:57], s[64:65]
	s_cbranch_execz .LBB10_130
; %bb.129:                              ;   in Loop: Header=BB10_121 Depth=3
	s_add_u32 s64, s52, s20
	s_addc_u32 s65, s53, s21
	v_mov_b32_e32 v15, s65
	v_add_co_u32_e32 v16, vcc, s64, v3
	v_addc_co_u32_e32 v17, vcc, v15, v4, vcc
	v_mov_b32_e32 v18, s45
	v_add_co_u32_e32 v15, vcc, s44, v16
	v_addc_co_u32_e32 v16, vcc, v17, v18, vcc
	flat_load_dwordx2 v[15:16], v[15:16]
	v_mov_b32_e32 v17, s62
	ds_read_b64 v[17:18], v17 offset:8
	s_waitcnt vmcnt(0) lgkmcnt(0)
	v_fma_f64 v[7:8], v[15:16], v[17:18], v[7:8]
.LBB10_130:                             ;   in Loop: Header=BB10_121 Depth=3
	s_or_b64 exec, exec, s[56:57]
.LBB10_131:                             ;   in Loop: Header=BB10_121 Depth=3
	s_andn2_saveexec_b64 s[54:55], s[54:55]
	s_cbranch_execz .LBB10_120
; %bb.132:                              ;   in Loop: Header=BB10_121 Depth=3
	v_mov_b32_e32 v15, s62
	ds_read_b64 v[15:16], v15 offset:8
	s_waitcnt lgkmcnt(0)
	v_add_f64 v[7:8], v[7:8], v[15:16]
	s_branch .LBB10_120
.LBB10_133:                             ;   in Loop: Header=BB10_104 Depth=1
	s_or_b64 exec, exec, s[42:43]
.LBB10_134:                             ;   in Loop: Header=BB10_104 Depth=1
	s_and_saveexec_b64 s[42:43], s[0:1]
	s_cbranch_execz .LBB10_103
; %bb.135:                              ;   in Loop: Header=BB10_104 Depth=1
	v_mad_u64_u32 v[3:4], s[0:1], s6, v11, 0
	v_mov_b32_e32 v1, v4
	v_mad_u64_u32 v[4:5], s[0:1], s7, v11, v[1:2]
	ds_read_b64 v[5:6], v9
	v_mov_b32_e32 v1, s33
	v_lshlrev_b64 v[3:4], 3, v[3:4]
	v_add_co_u32_e32 v3, vcc, s8, v3
	v_addc_co_u32_e32 v4, vcc, v1, v4, vcc
	s_waitcnt lgkmcnt(0)
	flat_store_dwordx2 v[3:4], v[5:6]
	s_branch .LBB10_103
.LBB10_136:
	s_mov_b64 s[0:1], 0
.LBB10_137:
	s_andn2_b64 vcc, exec, s[0:1]
	s_cbranch_vccnz .LBB10_173
; %bb.138:
	s_andn2_b64 vcc, exec, s[22:23]
	s_cbranch_vccnz .LBB10_173
; %bb.139:
	s_ashr_i32 s11, s10, 31
	s_add_i32 s26, s9, 0xfffffe00
	s_add_i32 s22, s9, -1
	s_lshl_b64 s[0:1], s[10:11], 3
	s_add_u32 s2, s20, s0
	s_addc_u32 s3, s21, s1
	s_ashr_i32 s23, s22, 31
	s_lshl_b64 s[0:1], s[22:23], 3
	s_sub_u32 s0, s2, s0
	s_subb_u32 s1, s3, s1
	s_add_u32 s20, s12, s0
	s_addc_u32 s21, s13, s1
	s_lshl_b64 s[24:25], s[16:17], 3
	s_add_u32 s23, s24, 8
	s_addc_u32 s36, s25, 0
	s_sub_i32 s0, s10, s9
	s_add_i32 s37, s0, 0x1ff
	s_add_u32 s0, s14, s10
	s_addc_u32 s1, s15, s11
	s_ashr_i32 s3, s9, 31
	s_mov_b32 s2, s9
	s_lshl_b64 s[0:1], s[0:1], 3
	s_lshl_b64 s[2:3], s[2:3], 3
	s_sub_u32 s0, s0, s2
	s_subb_u32 s1, s1, s3
	s_add_u32 s0, s12, s0
	s_addc_u32 s1, s13, s1
	s_add_u32 s11, s0, 0x1000
	s_addc_u32 s38, s1, 0
	s_lshl_b64 s[0:1], s[16:17], 4
	v_mov_b32_e32 v1, 0x2000
	v_add_u32_e32 v2, s9, v0
	s_add_u32 s39, s0, -16
	v_lshl_or_b32 v9, v0, 3, v1
	v_add_u32_e32 v1, 0xfffffe00, v2
	v_add_u32_e32 v10, 0xfffffc00, v2
	s_addc_u32 s40, s1, -1
	v_mov_b32_e32 v3, 0
	s_xor_b64 s[12:13], s[18:19], -1
	s_branch .LBB10_141
.LBB10_140:                             ;   in Loop: Header=BB10_141 Depth=1
	s_or_b64 exec, exec, s[14:15]
	s_addk_i32 s22, 0xfe00
	s_add_u32 s20, s20, 0x1000
	s_addc_u32 s21, s21, 0
	s_addk_i32 s9, 0xfe00
	s_addk_i32 s37, 0x200
	s_add_u32 s11, s11, 0x1000
	v_add_u32_e32 v1, 0xfffffe00, v1
	s_addc_u32 s38, s38, 0
	v_add_u32_e32 v10, 0xfffffe00, v10
	s_and_b64 vcc, exec, s[2:3]
	s_mov_b32 s26, s41
	s_waitcnt vmcnt(0) lgkmcnt(0)
	s_barrier
	s_cbranch_vccnz .LBB10_173
.LBB10_141:                             ; =>This Loop Header: Depth=1
                                        ;     Child Loop BB10_146 Depth 2
                                        ;     Child Loop BB10_155 Depth 2
                                        ;       Child Loop BB10_158 Depth 3
	v_add_u32_e32 v11, s26, v0
	v_cmp_gt_i32_e32 vcc, 0, v11
	v_cmp_lt_i32_e64 s[0:1], -1, v11
	s_and_saveexec_b64 s[14:15], s[0:1]
	s_cbranch_execz .LBB10_143
; %bb.142:                              ;   in Loop: Header=BB10_141 Depth=1
	v_mad_u64_u32 v[4:5], s[2:3], s6, v11, 0
	v_mov_b32_e32 v2, v5
	v_mad_u64_u32 v[5:6], s[2:3], s7, v11, v[2:3]
	v_mov_b32_e32 v2, s33
	v_lshlrev_b64 v[4:5], 3, v[4:5]
	v_add_co_u32_e64 v4, s[2:3], s8, v4
	v_addc_co_u32_e64 v5, s[2:3], v2, v5, s[2:3]
	flat_load_dwordx2 v[4:5], v[4:5]
	s_waitcnt vmcnt(0) lgkmcnt(0)
	ds_write_b64 v9, v[4:5]
.LBB10_143:                             ;   in Loop: Header=BB10_141 Depth=1
	s_or_b64 exec, exec, s[14:15]
	v_mov_b32_e32 v2, v3
	v_lshlrev_b64 v[4:5], 3, v[1:2]
	v_mov_b32_e32 v2, s21
	v_add_co_u32_e64 v4, s[2:3], s20, v4
	v_mov_b32_e32 v6, s20
	v_addc_co_u32_e64 v5, s[2:3], v2, v5, s[2:3]
	v_add_u32_e32 v2, s10, v11
	s_movk_i32 s18, 0x1ff
	s_movk_i32 s19, 0x2ff8
	v_mov_b32_e32 v7, s21
	s_xor_b64 s[14:15], vcc, -1
	s_mov_b32 s27, s22
	s_waitcnt lgkmcnt(0)
	s_barrier
	s_branch .LBB10_146
.LBB10_144:                             ;   in Loop: Header=BB10_146 Depth=2
	s_or_b64 exec, exec, s[2:3]
	v_add_co_u32_e32 v4, vcc, 8, v4
	s_add_i32 s18, s18, -1
	s_add_i32 s19, s19, -8
	v_addc_co_u32_e32 v5, vcc, 0, v5, vcc
	s_add_i32 s27, s27, -1
	v_add_co_u32_e32 v6, vcc, 8, v6
	s_cmp_eq_u32 s18, -1
	v_addc_co_u32_e32 v7, vcc, 0, v7, vcc
	s_cselect_b64 s[2:3], -1, 0
.LBB10_145:                             ;   in Loop: Header=BB10_146 Depth=2
	s_and_b64 vcc, exec, s[2:3]
	s_cbranch_vccnz .LBB10_151
.LBB10_146:                             ;   Parent Loop BB10_141 Depth=1
                                        ; =>  This Inner Loop Header: Depth=2
	s_add_i32 s28, s22, s18
	s_addk_i32 s28, 0xfe01
	s_cmp_lt_i32 s28, 0
	s_mov_b64 s[2:3], -1
	s_cbranch_scc1 .LBB10_145
; %bb.147:                              ;   in Loop: Header=BB10_146 Depth=2
	v_cmp_eq_u32_e32 vcc, s18, v0
	s_and_b64 s[30:31], s[12:13], vcc
	s_and_saveexec_b64 s[2:3], s[30:31]
	s_cbranch_execz .LBB10_149
; %bb.148:                              ;   in Loop: Header=BB10_146 Depth=2
	s_mul_i32 s29, s36, s27
	s_mul_hi_u32 s30, s23, s27
	s_add_i32 s29, s30, s29
	s_mul_i32 s30, s23, s27
	v_mov_b32_e32 v8, s29
	v_add_co_u32_e32 v12, vcc, s30, v6
	v_addc_co_u32_e32 v13, vcc, v7, v8, vcc
	flat_load_dwordx2 v[12:13], v[12:13]
	ds_read_b64 v[14:15], v9
	s_waitcnt vmcnt(0) lgkmcnt(0)
	v_div_scale_f64 v[16:17], s[30:31], v[12:13], v[12:13], v[14:15]
	v_div_scale_f64 v[22:23], vcc, v[14:15], v[12:13], v[14:15]
	v_rcp_f64_e32 v[18:19], v[16:17]
	v_fma_f64 v[20:21], -v[16:17], v[18:19], 1.0
	v_fma_f64 v[18:19], v[18:19], v[20:21], v[18:19]
	v_fma_f64 v[20:21], -v[16:17], v[18:19], 1.0
	v_fma_f64 v[18:19], v[18:19], v[20:21], v[18:19]
	v_mul_f64 v[20:21], v[22:23], v[18:19]
	v_fma_f64 v[16:17], -v[16:17], v[20:21], v[22:23]
	v_div_fmas_f64 v[16:17], v[16:17], v[18:19], v[20:21]
	v_div_fixup_f64 v[12:13], v[16:17], v[12:13], v[14:15]
	ds_write_b64 v9, v[12:13]
.LBB10_149:                             ;   in Loop: Header=BB10_146 Depth=2
	s_or_b64 exec, exec, s[2:3]
	v_cmp_gt_u32_e32 vcc, s18, v0
	v_cmp_le_i32_e64 s[2:3], s28, v2
	s_and_b64 s[28:29], s[14:15], vcc
	s_and_b64 s[28:29], s[28:29], s[2:3]
	s_waitcnt lgkmcnt(0)
	s_barrier
	s_and_saveexec_b64 s[2:3], s[28:29]
	s_cbranch_execz .LBB10_144
; %bb.150:                              ;   in Loop: Header=BB10_146 Depth=2
	v_mov_b32_e32 v8, s27
	v_mad_u64_u32 v[12:13], s[28:29], s24, v8, v[4:5]
	s_mul_i32 s28, s25, s27
	v_mov_b32_e32 v8, s19
	v_add_u32_e32 v13, s28, v13
	flat_load_dwordx2 v[12:13], v[12:13]
	ds_read_b64 v[14:15], v8
	ds_read_b64 v[16:17], v9
	s_waitcnt vmcnt(0) lgkmcnt(0)
	v_fma_f64 v[12:13], -v[12:13], v[14:15], v[16:17]
	ds_write_b64 v9, v[12:13]
	s_branch .LBB10_144
.LBB10_151:                             ;   in Loop: Header=BB10_141 Depth=1
	s_add_i32 s41, s26, 0xfffffe00
	s_cmp_lt_i32 s26, 1
	s_cselect_b64 s[2:3], -1, 0
	s_and_b64 vcc, exec, s[2:3]
	s_waitcnt lgkmcnt(0)
	s_barrier
	s_cbranch_vccnz .LBB10_171
; %bb.152:                              ;   in Loop: Header=BB10_141 Depth=1
	s_mul_i32 s14, s25, s26
	s_mul_hi_u32 s15, s24, s26
	s_add_i32 s15, s15, s14
	s_mul_i32 s14, s24, s26
	s_add_u32 s42, s11, s14
	s_addc_u32 s43, s38, s15
	s_mov_b64 s[14:15], 0
	v_mov_b32_e32 v4, v10
	v_mov_b32_e32 v12, v0
	s_mov_b32 s44, s41
                                        ; implicit-def: $sgpr18_sgpr19
	s_branch .LBB10_155
.LBB10_153:                             ;   in Loop: Header=BB10_155 Depth=2
	v_mad_u64_u32 v[7:8], s[28:29], s6, v2, 0
	s_add_i32 s30, s44, 0xfffffe00
	s_cmp_lt_i32 s44, 1
	v_mad_u64_u32 v[13:14], s[28:29], s7, v2, v[8:9]
	v_mov_b32_e32 v2, s33
	s_cselect_b64 s[28:29], -1, 0
	v_mov_b32_e32 v8, v13
	v_lshlrev_b64 v[7:8], 3, v[7:8]
	s_andn2_b64 s[18:19], s[18:19], exec
	v_add_co_u32_e32 v7, vcc, s8, v7
	v_addc_co_u32_e32 v8, vcc, v2, v8, vcc
	flat_load_dwordx2 v[13:14], v[7:8]
	s_and_b64 s[28:29], s[28:29], exec
	v_add_u32_e32 v4, 0xfffffe00, v4
	s_or_b64 s[18:19], s[18:19], s[28:29]
	s_mov_b32 s44, s30
	s_waitcnt vmcnt(0) lgkmcnt(0)
	v_add_f64 v[5:6], v[13:14], -v[5:6]
	flat_store_dwordx2 v[7:8], v[5:6]
.LBB10_154:                             ;   in Loop: Header=BB10_155 Depth=2
	s_or_b64 exec, exec, s[26:27]
	s_and_b64 s[26:27], exec, s[18:19]
	s_or_b64 s[14:15], s[26:27], s[14:15]
	s_andn2_b64 exec, exec, s[14:15]
	s_cbranch_execz .LBB10_170
.LBB10_155:                             ;   Parent Loop BB10_141 Depth=1
                                        ; =>  This Loop Header: Depth=2
                                        ;       Child Loop BB10_158 Depth 3
	v_add_u32_e32 v2, s44, v0
	v_cmp_lt_i32_e32 vcc, -1, v2
	s_or_b64 s[18:19], s[18:19], exec
	s_and_saveexec_b64 s[26:27], vcc
	s_cbranch_execz .LBB10_154
; %bb.156:                              ;   in Loop: Header=BB10_155 Depth=2
	v_mov_b32_e32 v5, v3
	v_lshlrev_b64 v[5:6], 3, v[4:5]
	v_mov_b32_e32 v8, s43
	v_add_co_u32_e32 v7, vcc, s42, v5
	v_addc_co_u32_e32 v8, vcc, v8, v6, vcc
	v_lshlrev_b64 v[5:6], 3, v[2:3]
	v_mov_b32_e32 v15, s5
	v_add_co_u32_e32 v14, vcc, s4, v5
	v_addc_co_u32_e32 v15, vcc, v15, v6, vcc
	v_mov_b32_e32 v5, 0
	v_add_u32_e32 v13, s10, v2
	v_add_u32_e32 v16, 0xfffffdff, v12
	;; [unrolled: 1-line block ×3, first 2 shown]
	v_mov_b32_e32 v6, 0
	s_mov_b32 s45, 0
	s_movk_i32 s46, 0x2000
	s_mov_b32 s28, s37
	s_branch .LBB10_158
.LBB10_157:                             ;   in Loop: Header=BB10_158 Depth=3
	s_or_b64 exec, exec, s[30:31]
	s_add_i32 s45, s45, 2
	s_add_i32 s46, s46, 16
	s_add_i32 s28, s28, -2
	v_mov_b32_e32 v17, s40
	v_add_co_u32_e32 v7, vcc, s39, v7
	s_cmpk_eq_i32 s45, 0x200
	v_addc_co_u32_e32 v8, vcc, v8, v17, vcc
	s_cbranch_scc1 .LBB10_153
.LBB10_158:                             ;   Parent Loop BB10_141 Depth=1
                                        ;     Parent Loop BB10_155 Depth=2
                                        ; =>    This Inner Loop Header: Depth=3
	v_cmp_ne_u32_e32 vcc, s45, v12
	s_add_i32 s29, s9, s45
	s_or_b64 s[30:31], s[12:13], vcc
	s_and_saveexec_b64 s[34:35], s[30:31]
	s_xor_b64 s[30:31], exec, s[34:35]
	s_cbranch_execz .LBB10_162
; %bb.159:                              ;   in Loop: Header=BB10_158 Depth=3
	s_add_i32 s34, s29, 0xfffffe00
	v_cmp_le_i32_e32 vcc, s34, v13
	s_and_saveexec_b64 s[34:35], vcc
	s_cbranch_execz .LBB10_161
; %bb.160:                              ;   in Loop: Header=BB10_158 Depth=3
	flat_load_dwordx2 v[17:18], v[7:8]
	v_mov_b32_e32 v19, s46
	ds_read_b64 v[19:20], v19
	s_waitcnt vmcnt(0) lgkmcnt(0)
	v_fma_f64 v[5:6], v[17:18], v[19:20], v[5:6]
.LBB10_161:                             ;   in Loop: Header=BB10_158 Depth=3
	s_or_b64 exec, exec, s[34:35]
.LBB10_162:                             ;   in Loop: Header=BB10_158 Depth=3
	s_andn2_saveexec_b64 s[30:31], s[30:31]
	s_cbranch_execz .LBB10_164
; %bb.163:                              ;   in Loop: Header=BB10_158 Depth=3
	v_mov_b32_e32 v17, s46
	ds_read_b64 v[17:18], v17
	s_waitcnt lgkmcnt(0)
	v_add_f64 v[5:6], v[5:6], v[17:18]
.LBB10_164:                             ;   in Loop: Header=BB10_158 Depth=3
	s_or_b64 exec, exec, s[30:31]
	v_cmp_ne_u32_e32 vcc, s45, v16
	s_or_b64 s[30:31], s[12:13], vcc
	s_and_saveexec_b64 s[34:35], s[30:31]
	s_xor_b64 s[30:31], exec, s[34:35]
	s_cbranch_execz .LBB10_168
; %bb.165:                              ;   in Loop: Header=BB10_158 Depth=3
	s_add_i32 s47, s29, 0xfffffe01
	v_cmp_le_i32_e32 vcc, s47, v13
	s_and_saveexec_b64 s[34:35], vcc
	s_cbranch_execz .LBB10_167
; %bb.166:                              ;   in Loop: Header=BB10_158 Depth=3
	s_mul_i32 s48, s17, s47
	s_mul_hi_u32 s49, s16, s47
	s_add_i32 s49, s49, s48
	s_mul_i32 s48, s16, s47
	s_lshl_b64 s[48:49], s[48:49], 3
	s_ashr_i32 s29, s28, 31
	v_mov_b32_e32 v17, s49
	v_add_co_u32_e32 v18, vcc, s48, v14
	v_addc_co_u32_e32 v19, vcc, v15, v17, vcc
	s_lshl_b64 s[48:49], s[28:29], 3
	v_mov_b32_e32 v20, s49
	v_add_co_u32_e32 v17, vcc, s48, v18
	v_addc_co_u32_e32 v18, vcc, v19, v20, vcc
	flat_load_dwordx2 v[17:18], v[17:18]
	v_mov_b32_e32 v19, s46
	ds_read_b64 v[19:20], v19 offset:8
	s_waitcnt vmcnt(0) lgkmcnt(0)
	v_fma_f64 v[5:6], v[17:18], v[19:20], v[5:6]
.LBB10_167:                             ;   in Loop: Header=BB10_158 Depth=3
	s_or_b64 exec, exec, s[34:35]
.LBB10_168:                             ;   in Loop: Header=BB10_158 Depth=3
	s_andn2_saveexec_b64 s[30:31], s[30:31]
	s_cbranch_execz .LBB10_157
; %bb.169:                              ;   in Loop: Header=BB10_158 Depth=3
	v_mov_b32_e32 v17, s46
	ds_read_b64 v[17:18], v17 offset:8
	s_waitcnt lgkmcnt(0)
	v_add_f64 v[5:6], v[5:6], v[17:18]
	s_branch .LBB10_157
.LBB10_170:                             ;   in Loop: Header=BB10_141 Depth=1
	s_or_b64 exec, exec, s[14:15]
.LBB10_171:                             ;   in Loop: Header=BB10_141 Depth=1
	s_and_saveexec_b64 s[14:15], s[0:1]
	s_cbranch_execz .LBB10_140
; %bb.172:                              ;   in Loop: Header=BB10_141 Depth=1
	v_mad_u64_u32 v[4:5], s[0:1], s6, v11, 0
	v_mov_b32_e32 v2, v5
	v_mad_u64_u32 v[5:6], s[0:1], s7, v11, v[2:3]
	ds_read_b64 v[6:7], v9
	v_mov_b32_e32 v2, s33
	v_lshlrev_b64 v[4:5], 3, v[4:5]
	v_add_co_u32_e32 v4, vcc, s8, v4
	v_addc_co_u32_e32 v5, vcc, v2, v5, vcc
	s_waitcnt lgkmcnt(0)
	flat_store_dwordx2 v[4:5], v[6:7]
	s_branch .LBB10_140
.LBB10_173:
	s_endpgm
	.section	.rodata,"a",@progbits
	.p2align	6, 0x0
	.amdhsa_kernel _ZL19rocblas_tbsv_kernelILb1ELi512EPKPKdPKPdEv18rocblas_operation_bbiiT1_lllT2_lll
		.amdhsa_group_segment_fixed_size 16384
		.amdhsa_private_segment_fixed_size 0
		.amdhsa_kernarg_size 80
		.amdhsa_user_sgpr_count 6
		.amdhsa_user_sgpr_private_segment_buffer 1
		.amdhsa_user_sgpr_dispatch_ptr 0
		.amdhsa_user_sgpr_queue_ptr 0
		.amdhsa_user_sgpr_kernarg_segment_ptr 1
		.amdhsa_user_sgpr_dispatch_id 0
		.amdhsa_user_sgpr_flat_scratch_init 0
		.amdhsa_user_sgpr_private_segment_size 0
		.amdhsa_uses_dynamic_stack 0
		.amdhsa_system_sgpr_private_segment_wavefront_offset 0
		.amdhsa_system_sgpr_workgroup_id_x 1
		.amdhsa_system_sgpr_workgroup_id_y 0
		.amdhsa_system_sgpr_workgroup_id_z 0
		.amdhsa_system_sgpr_workgroup_info 0
		.amdhsa_system_vgpr_workitem_id 0
		.amdhsa_next_free_vgpr 29
		.amdhsa_next_free_sgpr 68
		.amdhsa_reserve_vcc 1
		.amdhsa_reserve_flat_scratch 0
		.amdhsa_float_round_mode_32 0
		.amdhsa_float_round_mode_16_64 0
		.amdhsa_float_denorm_mode_32 3
		.amdhsa_float_denorm_mode_16_64 3
		.amdhsa_dx10_clamp 1
		.amdhsa_ieee_mode 1
		.amdhsa_fp16_overflow 0
		.amdhsa_exception_fp_ieee_invalid_op 0
		.amdhsa_exception_fp_denorm_src 0
		.amdhsa_exception_fp_ieee_div_zero 0
		.amdhsa_exception_fp_ieee_overflow 0
		.amdhsa_exception_fp_ieee_underflow 0
		.amdhsa_exception_fp_ieee_inexact 0
		.amdhsa_exception_int_div_zero 0
	.end_amdhsa_kernel
	.section	.text._ZL19rocblas_tbsv_kernelILb1ELi512EPKPKdPKPdEv18rocblas_operation_bbiiT1_lllT2_lll,"axG",@progbits,_ZL19rocblas_tbsv_kernelILb1ELi512EPKPKdPKPdEv18rocblas_operation_bbiiT1_lllT2_lll,comdat
.Lfunc_end10:
	.size	_ZL19rocblas_tbsv_kernelILb1ELi512EPKPKdPKPdEv18rocblas_operation_bbiiT1_lllT2_lll, .Lfunc_end10-_ZL19rocblas_tbsv_kernelILb1ELi512EPKPKdPKPdEv18rocblas_operation_bbiiT1_lllT2_lll
                                        ; -- End function
	.set _ZL19rocblas_tbsv_kernelILb1ELi512EPKPKdPKPdEv18rocblas_operation_bbiiT1_lllT2_lll.num_vgpr, 26
	.set _ZL19rocblas_tbsv_kernelILb1ELi512EPKPKdPKPdEv18rocblas_operation_bbiiT1_lllT2_lll.num_agpr, 0
	.set _ZL19rocblas_tbsv_kernelILb1ELi512EPKPKdPKPdEv18rocblas_operation_bbiiT1_lllT2_lll.numbered_sgpr, 68
	.set _ZL19rocblas_tbsv_kernelILb1ELi512EPKPKdPKPdEv18rocblas_operation_bbiiT1_lllT2_lll.num_named_barrier, 0
	.set _ZL19rocblas_tbsv_kernelILb1ELi512EPKPKdPKPdEv18rocblas_operation_bbiiT1_lllT2_lll.private_seg_size, 0
	.set _ZL19rocblas_tbsv_kernelILb1ELi512EPKPKdPKPdEv18rocblas_operation_bbiiT1_lllT2_lll.uses_vcc, 1
	.set _ZL19rocblas_tbsv_kernelILb1ELi512EPKPKdPKPdEv18rocblas_operation_bbiiT1_lllT2_lll.uses_flat_scratch, 0
	.set _ZL19rocblas_tbsv_kernelILb1ELi512EPKPKdPKPdEv18rocblas_operation_bbiiT1_lllT2_lll.has_dyn_sized_stack, 0
	.set _ZL19rocblas_tbsv_kernelILb1ELi512EPKPKdPKPdEv18rocblas_operation_bbiiT1_lllT2_lll.has_recursion, 0
	.set _ZL19rocblas_tbsv_kernelILb1ELi512EPKPKdPKPdEv18rocblas_operation_bbiiT1_lllT2_lll.has_indirect_call, 0
	.section	.AMDGPU.csdata,"",@progbits
; Kernel info:
; codeLenInByte = 6032
; TotalNumSgprs: 72
; NumVgprs: 26
; ScratchSize: 0
; MemoryBound: 0
; FloatMode: 240
; IeeeMode: 1
; LDSByteSize: 16384 bytes/workgroup (compile time only)
; SGPRBlocks: 8
; VGPRBlocks: 7
; NumSGPRsForWavesPerEU: 72
; NumVGPRsForWavesPerEU: 29
; Occupancy: 8
; WaveLimiterHint : 1
; COMPUTE_PGM_RSRC2:SCRATCH_EN: 0
; COMPUTE_PGM_RSRC2:USER_SGPR: 6
; COMPUTE_PGM_RSRC2:TRAP_HANDLER: 0
; COMPUTE_PGM_RSRC2:TGID_X_EN: 1
; COMPUTE_PGM_RSRC2:TGID_Y_EN: 0
; COMPUTE_PGM_RSRC2:TGID_Z_EN: 0
; COMPUTE_PGM_RSRC2:TIDIG_COMP_CNT: 0
	.section	.text._ZL19rocblas_tbsv_kernelILb0ELi512EPKPKdPKPdEv18rocblas_operation_bbiiT1_lllT2_lll,"axG",@progbits,_ZL19rocblas_tbsv_kernelILb0ELi512EPKPKdPKPdEv18rocblas_operation_bbiiT1_lllT2_lll,comdat
	.globl	_ZL19rocblas_tbsv_kernelILb0ELi512EPKPKdPKPdEv18rocblas_operation_bbiiT1_lllT2_lll ; -- Begin function _ZL19rocblas_tbsv_kernelILb0ELi512EPKPKdPKPdEv18rocblas_operation_bbiiT1_lllT2_lll
	.p2align	8
	.type	_ZL19rocblas_tbsv_kernelILb0ELi512EPKPKdPKPdEv18rocblas_operation_bbiiT1_lllT2_lll,@function
_ZL19rocblas_tbsv_kernelILb0ELi512EPKPKdPKPdEv18rocblas_operation_bbiiT1_lllT2_lll: ; @_ZL19rocblas_tbsv_kernelILb0ELi512EPKPKdPKPdEv18rocblas_operation_bbiiT1_lllT2_lll
; %bb.0:
	s_load_dwordx2 s[26:27], s[4:5], 0x0
	s_load_dwordx4 s[8:11], s[4:5], 0x4
	s_load_dwordx4 s[12:15], s[4:5], 0x10
	s_load_dwordx2 s[16:17], s[4:5], 0x20
	s_mov_b32 s7, 0
	s_waitcnt lgkmcnt(0)
	s_bitcmp1_b32 s27, 0
	s_cselect_b64 s[0:1], -1, 0
	s_xor_b64 s[24:25], s[0:1], -1
	s_bitcmp1_b32 s8, 8
	s_cselect_b64 s[18:19], -1, 0
	s_lshl_b64 s[22:23], s[6:7], 3
	s_add_u32 s20, s12, s22
	s_addc_u32 s21, s13, s23
	s_load_dwordx2 s[12:13], s[20:21], 0x0
	s_load_dwordx4 s[0:3], s[4:5], 0x30
	s_load_dwordx2 s[6:7], s[4:5], 0x40
	s_lshl_b64 s[20:21], s[14:15], 3
	s_waitcnt lgkmcnt(0)
	s_add_u32 s4, s12, s20
	s_addc_u32 s5, s13, s21
	s_add_u32 s0, s0, s22
	s_addc_u32 s1, s1, s23
	s_load_dwordx2 s[0:1], s[0:1], 0x0
	s_lshl_b64 s[2:3], s[2:3], 3
	s_waitcnt lgkmcnt(0)
	s_add_u32 s8, s0, s2
	s_addc_u32 s33, s1, s3
	s_cmp_gt_i32 s9, 0
	s_cselect_b64 s[22:23], -1, 0
	s_cmpk_lg_i32 s26, 0x6f
	s_mov_b64 s[0:1], -1
	s_cbranch_scc0 .LBB11_99
; %bb.1:
	s_and_b64 vcc, exec, s[24:25]
	s_cbranch_vccz .LBB11_50
; %bb.2:
	s_andn2_b64 vcc, exec, s[22:23]
	s_cbranch_vccnz .LBB11_49
; %bb.3:
	s_ashr_i32 s1, s9, 31
	s_mov_b32 s0, s9
	s_add_i32 s36, s9, 0xfffffe00
	s_add_i32 s11, s9, -1
	s_lshl_b64 s[0:1], s[0:1], 3
	s_add_u32 s0, s20, s0
	s_addc_u32 s1, s21, s1
	s_add_u32 s0, s12, s0
	v_mov_b32_e32 v1, 0x3000
	s_addc_u32 s1, s13, s1
	v_lshl_or_b32 v9, v0, 3, v1
	s_add_u32 s26, s0, 0xfffff000
	v_add_u32_e32 v1, s9, v0
	v_sub_u32_e32 v10, 0, v0
	s_addc_u32 s27, s1, -1
	v_add_u32_e32 v11, 0xfffffc00, v1
	s_lshl_b64 s[28:29], s[16:17], 3
	v_mov_b32_e32 v12, s5
	s_xor_b64 s[30:31], s[18:19], -1
	v_mov_b32_e32 v2, 0
	s_mov_b32 s44, s9
	s_branch .LBB11_5
.LBB11_4:                               ;   in Loop: Header=BB11_5 Depth=1
	s_or_b64 exec, exec, s[34:35]
	s_addk_i32 s11, 0xfe00
	s_addk_i32 s44, 0xfe00
	s_add_u32 s26, s26, 0xfffff000
	s_addc_u32 s27, s27, -1
	v_add_u32_e32 v11, 0xfffffe00, v11
	s_andn2_b64 vcc, exec, s[2:3]
	s_mov_b32 s36, s45
	s_waitcnt vmcnt(0) lgkmcnt(0)
	s_barrier
	s_cbranch_vccz .LBB11_49
.LBB11_5:                               ; =>This Loop Header: Depth=1
                                        ;     Child Loop BB11_10 Depth 2
                                        ;     Child Loop BB11_19 Depth 2
                                        ;       Child Loop BB11_22 Depth 3
	v_add_u32_e32 v13, s36, v0
	v_cmp_gt_i32_e32 vcc, 0, v13
	v_cmp_lt_i32_e64 s[0:1], -1, v13
	s_and_saveexec_b64 s[34:35], s[0:1]
	s_cbranch_execz .LBB11_7
; %bb.6:                                ;   in Loop: Header=BB11_5 Depth=1
	v_mad_u64_u32 v[3:4], s[2:3], s6, v13, 0
	v_mov_b32_e32 v1, v4
	v_mad_u64_u32 v[4:5], s[2:3], s7, v13, v[1:2]
	v_mov_b32_e32 v1, s33
	v_lshlrev_b64 v[3:4], 3, v[3:4]
	v_add_co_u32_e64 v3, s[2:3], s8, v3
	v_addc_co_u32_e64 v4, s[2:3], v1, v4, s[2:3]
	flat_load_dwordx2 v[3:4], v[3:4]
	s_waitcnt vmcnt(0) lgkmcnt(0)
	ds_write_b64 v9, v[3:4]
.LBB11_7:                               ;   in Loop: Header=BB11_5 Depth=1
	s_or_b64 exec, exec, s[34:35]
	v_ashrrev_i32_e32 v1, 31, v13
	v_mul_lo_u32 v6, s17, v13
	v_mul_lo_u32 v1, s16, v1
	v_mad_u64_u32 v[4:5], s[2:3], s16, v13, 0
	v_add_u32_e32 v3, s10, v13
	s_movk_i32 s37, 0x1ff
	v_add3_u32 v5, v5, v1, v6
	v_lshlrev_b64 v[4:5], 3, v[4:5]
	s_movk_i32 s38, 0x3ff8
	v_add_co_u32_e64 v4, s[2:3], s4, v4
	v_addc_co_u32_e64 v5, s[2:3], v12, v5, s[2:3]
	s_xor_b64 s[34:35], vcc, -1
	s_waitcnt lgkmcnt(0)
	s_barrier
	s_branch .LBB11_10
.LBB11_8:                               ;   in Loop: Header=BB11_10 Depth=2
	s_or_b64 exec, exec, s[2:3]
	s_add_i32 s37, s37, -1
	s_add_i32 s38, s38, -8
	s_cmp_eq_u32 s37, -1
	s_cselect_b64 s[2:3], -1, 0
.LBB11_9:                               ;   in Loop: Header=BB11_10 Depth=2
	s_and_b64 vcc, exec, s[2:3]
	s_cbranch_vccnz .LBB11_15
.LBB11_10:                              ;   Parent Loop BB11_5 Depth=1
                                        ; =>  This Inner Loop Header: Depth=2
	s_add_i32 s39, s11, s37
	s_addk_i32 s39, 0xfe01
	s_cmp_lt_i32 s39, 0
	s_mov_b64 s[2:3], -1
	s_cbranch_scc1 .LBB11_9
; %bb.11:                               ;   in Loop: Header=BB11_10 Depth=2
	v_add_u32_e32 v1, s37, v10
	v_cmp_eq_u32_e32 vcc, 0, v1
	s_and_b64 s[40:41], s[30:31], vcc
	s_and_saveexec_b64 s[2:3], s[40:41]
	s_cbranch_execz .LBB11_13
; %bb.12:                               ;   in Loop: Header=BB11_10 Depth=2
	s_mul_i32 s40, s17, s39
	s_mul_hi_u32 s41, s16, s39
	s_add_i32 s41, s41, s40
	s_mul_i32 s40, s16, s39
	s_lshl_b64 s[40:41], s[40:41], 3
	s_add_u32 s40, s4, s40
	s_addc_u32 s41, s5, s41
	v_mov_b32_e32 v6, s40
	v_mov_b32_e32 v7, s41
	flat_load_dwordx2 v[6:7], v[6:7]
	ds_read_b64 v[14:15], v9
	s_waitcnt vmcnt(0) lgkmcnt(0)
	v_div_scale_f64 v[16:17], s[40:41], v[6:7], v[6:7], v[14:15]
	v_div_scale_f64 v[22:23], vcc, v[14:15], v[6:7], v[14:15]
	v_rcp_f64_e32 v[18:19], v[16:17]
	v_fma_f64 v[20:21], -v[16:17], v[18:19], 1.0
	v_fma_f64 v[18:19], v[18:19], v[20:21], v[18:19]
	v_fma_f64 v[20:21], -v[16:17], v[18:19], 1.0
	v_fma_f64 v[18:19], v[18:19], v[20:21], v[18:19]
	v_mul_f64 v[20:21], v[22:23], v[18:19]
	v_fma_f64 v[16:17], -v[16:17], v[20:21], v[22:23]
	v_div_fmas_f64 v[16:17], v[16:17], v[18:19], v[20:21]
	v_div_fixup_f64 v[6:7], v[16:17], v[6:7], v[14:15]
	ds_write_b64 v9, v[6:7]
.LBB11_13:                              ;   in Loop: Header=BB11_10 Depth=2
	s_or_b64 exec, exec, s[2:3]
	v_cmp_gt_u32_e32 vcc, s37, v0
	v_cmp_le_i32_e64 s[2:3], s39, v3
	s_and_b64 s[40:41], s[34:35], vcc
	s_and_b64 s[40:41], s[40:41], s[2:3]
	s_waitcnt lgkmcnt(0)
	s_barrier
	s_and_saveexec_b64 s[2:3], s[40:41]
	s_cbranch_execz .LBB11_8
; %bb.14:                               ;   in Loop: Header=BB11_10 Depth=2
	v_lshlrev_b64 v[6:7], 3, v[1:2]
	v_mov_b32_e32 v1, s38
	v_add_co_u32_e32 v6, vcc, v4, v6
	v_addc_co_u32_e32 v7, vcc, v5, v7, vcc
	flat_load_dwordx2 v[6:7], v[6:7]
	ds_read_b64 v[14:15], v1
	ds_read_b64 v[16:17], v9
	s_waitcnt vmcnt(0) lgkmcnt(0)
	v_fma_f64 v[6:7], -v[6:7], v[14:15], v[16:17]
	ds_write_b64 v9, v[6:7]
	s_branch .LBB11_8
.LBB11_15:                              ;   in Loop: Header=BB11_5 Depth=1
	s_add_i32 s45, s36, 0xfffffe00
	s_cmp_lt_i32 s36, 1
	s_cselect_b64 s[2:3], -1, 0
	s_and_b64 vcc, exec, s[2:3]
	s_waitcnt lgkmcnt(0)
	s_barrier
	s_cbranch_vccnz .LBB11_47
; %bb.16:                               ;   in Loop: Header=BB11_5 Depth=1
	v_mad_i64_i32 v[3:4], s[34:35], v11, -8, s[26:27]
	s_mov_b64 s[34:35], 0
	v_mov_b32_e32 v1, v11
	v_mov_b32_e32 v14, v0
	s_mov_b32 s46, s45
                                        ; implicit-def: $sgpr36_sgpr37
	s_branch .LBB11_19
.LBB11_17:                              ;   in Loop: Header=BB11_19 Depth=2
	v_mad_u64_u32 v[7:8], s[40:41], s6, v15, 0
	s_add_i32 s42, s46, 0xfffffe00
	s_cmp_lt_i32 s46, 1
	v_mad_u64_u32 v[15:16], s[40:41], s7, v15, v[8:9]
	v_mov_b32_e32 v16, s33
	s_cselect_b64 s[40:41], -1, 0
	v_mov_b32_e32 v8, v15
	v_lshlrev_b64 v[7:8], 3, v[7:8]
	s_andn2_b64 s[36:37], s[36:37], exec
	v_add_co_u32_e32 v7, vcc, s8, v7
	v_addc_co_u32_e32 v8, vcc, v16, v8, vcc
	flat_load_dwordx2 v[15:16], v[7:8]
	v_add_co_u32_e32 v3, vcc, 0x1000, v3
	s_and_b64 s[40:41], s[40:41], exec
	v_add_u32_e32 v1, 0xfffffe00, v1
	v_addc_co_u32_e32 v4, vcc, 0, v4, vcc
	s_or_b64 s[36:37], s[36:37], s[40:41]
	s_mov_b32 s46, s42
	s_waitcnt vmcnt(0) lgkmcnt(0)
	v_add_f64 v[5:6], v[15:16], -v[5:6]
	flat_store_dwordx2 v[7:8], v[5:6]
.LBB11_18:                              ;   in Loop: Header=BB11_19 Depth=2
	s_or_b64 exec, exec, s[38:39]
	s_and_b64 s[38:39], exec, s[36:37]
	s_or_b64 s[34:35], s[38:39], s[34:35]
	s_andn2_b64 exec, exec, s[34:35]
	s_cbranch_execz .LBB11_46
.LBB11_19:                              ;   Parent Loop BB11_5 Depth=1
                                        ; =>  This Loop Header: Depth=2
                                        ;       Child Loop BB11_22 Depth 3
	v_add_u32_e32 v15, s46, v0
	v_cmp_lt_i32_e32 vcc, -1, v15
	s_or_b64 s[36:37], s[36:37], exec
	s_and_saveexec_b64 s[38:39], vcc
	s_cbranch_execz .LBB11_18
; %bb.20:                               ;   in Loop: Header=BB11_19 Depth=2
	v_mad_u64_u32 v[7:8], s[40:41], s28, v1, v[3:4]
	v_add_u32_e32 v16, s10, v15
	v_add_u32_e32 v17, 0xfffffdfd, v14
	v_mov_b32_e32 v5, v8
	v_mad_u64_u32 v[5:6], s[40:41], s29, v1, v[5:6]
	v_add_u32_e32 v18, 0xfffffdfe, v14
	v_add_u32_e32 v19, 0xfffffdff, v14
	v_mov_b32_e32 v8, v5
	v_mov_b32_e32 v5, 0
	v_add_u32_e32 v14, 0xfffffe00, v14
	v_mov_b32_e32 v6, 0
	s_mov_b32 s47, 0
	s_movk_i32 s48, 0x3000
	s_branch .LBB11_22
.LBB11_21:                              ;   in Loop: Header=BB11_22 Depth=3
	s_or_b64 exec, exec, s[40:41]
	s_add_i32 s47, s47, 4
	s_add_i32 s48, s48, 32
	v_add_co_u32_e32 v7, vcc, 32, v7
	s_cmpk_eq_i32 s47, 0x200
	v_addc_co_u32_e32 v8, vcc, 0, v8, vcc
	s_cbranch_scc1 .LBB11_17
.LBB11_22:                              ;   Parent Loop BB11_5 Depth=1
                                        ;     Parent Loop BB11_19 Depth=2
                                        ; =>    This Inner Loop Header: Depth=3
	v_cmp_ne_u32_e32 vcc, s47, v14
	s_add_i32 s49, s44, s47
	s_or_b64 s[40:41], s[30:31], vcc
	s_and_saveexec_b64 s[42:43], s[40:41]
	s_xor_b64 s[40:41], exec, s[42:43]
	s_cbranch_execz .LBB11_26
; %bb.23:                               ;   in Loop: Header=BB11_22 Depth=3
	s_add_i32 s42, s49, 0xfffffe00
	v_cmp_le_i32_e32 vcc, s42, v16
	s_and_saveexec_b64 s[42:43], vcc
	s_cbranch_execz .LBB11_25
; %bb.24:                               ;   in Loop: Header=BB11_22 Depth=3
	flat_load_dwordx2 v[20:21], v[7:8]
	v_mov_b32_e32 v22, s48
	ds_read_b64 v[22:23], v22
	s_waitcnt vmcnt(0) lgkmcnt(0)
	v_fma_f64 v[5:6], v[20:21], v[22:23], v[5:6]
.LBB11_25:                              ;   in Loop: Header=BB11_22 Depth=3
	s_or_b64 exec, exec, s[42:43]
.LBB11_26:                              ;   in Loop: Header=BB11_22 Depth=3
	s_andn2_saveexec_b64 s[40:41], s[40:41]
	s_cbranch_execz .LBB11_28
; %bb.27:                               ;   in Loop: Header=BB11_22 Depth=3
	v_mov_b32_e32 v20, s48
	ds_read_b64 v[20:21], v20
	s_waitcnt lgkmcnt(0)
	v_add_f64 v[5:6], v[5:6], v[20:21]
.LBB11_28:                              ;   in Loop: Header=BB11_22 Depth=3
	s_or_b64 exec, exec, s[40:41]
	v_cmp_ne_u32_e32 vcc, s47, v19
	s_or_b64 s[40:41], s[30:31], vcc
	s_and_saveexec_b64 s[42:43], s[40:41]
	s_xor_b64 s[40:41], exec, s[42:43]
	s_cbranch_execz .LBB11_32
; %bb.29:                               ;   in Loop: Header=BB11_22 Depth=3
	s_add_i32 s42, s49, 0xfffffe01
	v_cmp_le_i32_e32 vcc, s42, v16
	s_and_saveexec_b64 s[42:43], vcc
	s_cbranch_execz .LBB11_31
; %bb.30:                               ;   in Loop: Header=BB11_22 Depth=3
	flat_load_dwordx2 v[20:21], v[7:8] offset:8
	v_mov_b32_e32 v22, s48
	ds_read_b64 v[22:23], v22 offset:8
	s_waitcnt vmcnt(0) lgkmcnt(0)
	v_fma_f64 v[5:6], v[20:21], v[22:23], v[5:6]
.LBB11_31:                              ;   in Loop: Header=BB11_22 Depth=3
	s_or_b64 exec, exec, s[42:43]
.LBB11_32:                              ;   in Loop: Header=BB11_22 Depth=3
	s_andn2_saveexec_b64 s[40:41], s[40:41]
	s_cbranch_execz .LBB11_34
; %bb.33:                               ;   in Loop: Header=BB11_22 Depth=3
	v_mov_b32_e32 v20, s48
	ds_read_b64 v[20:21], v20 offset:8
	s_waitcnt lgkmcnt(0)
	v_add_f64 v[5:6], v[5:6], v[20:21]
.LBB11_34:                              ;   in Loop: Header=BB11_22 Depth=3
	s_or_b64 exec, exec, s[40:41]
	v_cmp_ne_u32_e32 vcc, s47, v18
	s_or_b64 s[40:41], s[30:31], vcc
	s_and_saveexec_b64 s[42:43], s[40:41]
	s_xor_b64 s[40:41], exec, s[42:43]
	s_cbranch_execz .LBB11_38
; %bb.35:                               ;   in Loop: Header=BB11_22 Depth=3
	s_add_i32 s42, s49, 0xfffffe02
	v_cmp_le_i32_e32 vcc, s42, v16
	s_and_saveexec_b64 s[42:43], vcc
	s_cbranch_execz .LBB11_37
; %bb.36:                               ;   in Loop: Header=BB11_22 Depth=3
	flat_load_dwordx2 v[20:21], v[7:8] offset:16
	v_mov_b32_e32 v22, s48
	ds_read_b64 v[22:23], v22 offset:16
	s_waitcnt vmcnt(0) lgkmcnt(0)
	v_fma_f64 v[5:6], v[20:21], v[22:23], v[5:6]
.LBB11_37:                              ;   in Loop: Header=BB11_22 Depth=3
	s_or_b64 exec, exec, s[42:43]
.LBB11_38:                              ;   in Loop: Header=BB11_22 Depth=3
	s_andn2_saveexec_b64 s[40:41], s[40:41]
	s_cbranch_execz .LBB11_40
; %bb.39:                               ;   in Loop: Header=BB11_22 Depth=3
	v_mov_b32_e32 v20, s48
	ds_read_b64 v[20:21], v20 offset:16
	s_waitcnt lgkmcnt(0)
	v_add_f64 v[5:6], v[5:6], v[20:21]
.LBB11_40:                              ;   in Loop: Header=BB11_22 Depth=3
	s_or_b64 exec, exec, s[40:41]
	v_cmp_ne_u32_e32 vcc, s47, v17
	s_or_b64 s[40:41], s[30:31], vcc
	s_and_saveexec_b64 s[42:43], s[40:41]
	s_xor_b64 s[40:41], exec, s[42:43]
	s_cbranch_execz .LBB11_44
; %bb.41:                               ;   in Loop: Header=BB11_22 Depth=3
	s_addk_i32 s49, 0xfe03
	v_cmp_le_i32_e32 vcc, s49, v16
	s_and_saveexec_b64 s[42:43], vcc
	s_cbranch_execz .LBB11_43
; %bb.42:                               ;   in Loop: Header=BB11_22 Depth=3
	flat_load_dwordx2 v[20:21], v[7:8] offset:24
	v_mov_b32_e32 v22, s48
	ds_read_b64 v[22:23], v22 offset:24
	s_waitcnt vmcnt(0) lgkmcnt(0)
	v_fma_f64 v[5:6], v[20:21], v[22:23], v[5:6]
.LBB11_43:                              ;   in Loop: Header=BB11_22 Depth=3
	s_or_b64 exec, exec, s[42:43]
.LBB11_44:                              ;   in Loop: Header=BB11_22 Depth=3
	s_andn2_saveexec_b64 s[40:41], s[40:41]
	s_cbranch_execz .LBB11_21
; %bb.45:                               ;   in Loop: Header=BB11_22 Depth=3
	v_mov_b32_e32 v20, s48
	ds_read_b64 v[20:21], v20 offset:24
	s_waitcnt lgkmcnt(0)
	v_add_f64 v[5:6], v[5:6], v[20:21]
	s_branch .LBB11_21
.LBB11_46:                              ;   in Loop: Header=BB11_5 Depth=1
	s_or_b64 exec, exec, s[34:35]
.LBB11_47:                              ;   in Loop: Header=BB11_5 Depth=1
	s_and_saveexec_b64 s[34:35], s[0:1]
	s_cbranch_execz .LBB11_4
; %bb.48:                               ;   in Loop: Header=BB11_5 Depth=1
	v_mad_u64_u32 v[3:4], s[0:1], s6, v13, 0
	v_mov_b32_e32 v1, v4
	v_mad_u64_u32 v[4:5], s[0:1], s7, v13, v[1:2]
	ds_read_b64 v[5:6], v9
	v_mov_b32_e32 v1, s33
	v_lshlrev_b64 v[3:4], 3, v[3:4]
	v_add_co_u32_e32 v3, vcc, s8, v3
	v_addc_co_u32_e32 v4, vcc, v1, v4, vcc
	s_waitcnt lgkmcnt(0)
	flat_store_dwordx2 v[3:4], v[5:6]
	s_branch .LBB11_4
.LBB11_49:
	s_mov_b64 s[0:1], 0
.LBB11_50:
	s_andn2_b64 vcc, exec, s[0:1]
	s_cbranch_vccnz .LBB11_98
; %bb.51:
	s_andn2_b64 vcc, exec, s[22:23]
	s_cbranch_vccnz .LBB11_98
; %bb.52:
	s_lshl_b64 s[26:27], s[16:17], 3
	s_add_u32 s28, s26, -8
	s_addc_u32 s30, s27, -1
	s_ashr_i32 s11, s10, 31
	s_lshl_b64 s[0:1], s[10:11], 3
	s_add_u32 s2, s12, s0
	s_addc_u32 s3, s13, s1
	s_add_u32 s2, s2, s20
	s_addc_u32 s3, s3, s21
	v_mov_b32_e32 v1, s2
	v_mov_b32_e32 v2, s3
	v_mad_u64_u32 v[1:2], s[28:29], s28, v0, v[1:2]
	v_mov_b32_e32 v3, 0x1000
	v_lshl_or_b32 v11, v0, 3, v3
	v_mad_u64_u32 v[2:3], s[28:29], s30, v0, v[2:3]
	v_or_b32_e32 v12, 0x200, v0
	v_mad_u64_u32 v[3:4], s[28:29], s16, v12, 0
	s_lshl_b64 s[28:29], s[16:17], 12
	s_add_u32 s0, s20, s0
	v_mad_u64_u32 v[4:5], s[30:31], s17, v12, v[4:5]
	s_addc_u32 s1, s21, s1
	s_add_u32 s30, s12, s0
	s_addc_u32 s31, s13, s1
	v_lshlrev_b64 v[3:4], 3, v[3:4]
	s_add_u32 s11, s28, 0x1000
	s_addc_u32 s46, s29, 0
	v_mov_b32_e32 v5, s3
	v_add_co_u32_e32 v3, vcc, s2, v3
	s_add_u32 s47, s28, 0xfffff000
	v_addc_co_u32_e32 v4, vcc, v5, v4, vcc
	s_addc_u32 s48, s29, -1
	s_mov_b32 s49, 0
	s_xor_b64 s[34:35], s[18:19], -1
	s_branch .LBB11_54
.LBB11_53:                              ;   in Loop: Header=BB11_54 Depth=1
	s_or_b64 exec, exec, s[36:37]
	v_mov_b32_e32 v5, s29
	v_add_co_u32_e32 v1, vcc, s28, v1
	v_addc_co_u32_e32 v2, vcc, v2, v5, vcc
	v_mov_b32_e32 v5, s46
	v_add_co_u32_e32 v3, vcc, s11, v3
	s_add_u32 s30, s30, s28
	v_addc_co_u32_e32 v4, vcc, v4, v5, vcc
	s_addc_u32 s31, s31, s29
	v_add_u32_e32 v12, 0x200, v12
	s_and_b64 vcc, exec, s[2:3]
	s_mov_b32 s49, s50
	s_waitcnt vmcnt(0) lgkmcnt(0)
	s_barrier
	s_cbranch_vccnz .LBB11_98
.LBB11_54:                              ; =>This Loop Header: Depth=1
                                        ;     Child Loop BB11_59 Depth 2
                                        ;     Child Loop BB11_68 Depth 2
                                        ;       Child Loop BB11_71 Depth 3
	v_add_u32_e32 v13, s49, v0
	v_cmp_le_i32_e32 vcc, s9, v13
	v_cmp_gt_i32_e64 s[0:1], s9, v13
	s_and_saveexec_b64 s[36:37], s[0:1]
	s_cbranch_execz .LBB11_56
; %bb.55:                               ;   in Loop: Header=BB11_54 Depth=1
	v_mad_u64_u32 v[5:6], s[2:3], s6, v13, 0
	v_mad_u64_u32 v[6:7], s[2:3], s7, v13, v[6:7]
	v_mov_b32_e32 v7, s33
	v_lshlrev_b64 v[5:6], 3, v[5:6]
	v_add_co_u32_e64 v5, s[2:3], s8, v5
	v_addc_co_u32_e64 v6, s[2:3], v7, v6, s[2:3]
	flat_load_dwordx2 v[5:6], v[5:6]
	s_waitcnt vmcnt(0) lgkmcnt(0)
	ds_write_b64 v11, v[5:6]
.LBB11_56:                              ;   in Loop: Header=BB11_54 Depth=1
	s_or_b64 exec, exec, s[36:37]
	v_mov_b32_e32 v5, s30
	v_mov_b32_e32 v8, v2
	v_subrev_u32_e32 v9, s10, v13
	s_mov_b32 s38, 0
	s_movk_i32 s39, 0x1000
	v_mov_b32_e32 v6, s31
	s_xor_b64 s[36:37], vcc, -1
	v_mov_b32_e32 v7, v1
	s_waitcnt lgkmcnt(0)
	s_barrier
	s_branch .LBB11_59
.LBB11_57:                              ;   in Loop: Header=BB11_59 Depth=2
	s_or_b64 exec, exec, s[2:3]
	v_add_co_u32_e32 v7, vcc, 8, v7
	s_add_i32 s38, s38, 1
	s_add_i32 s39, s39, 8
	v_addc_co_u32_e32 v8, vcc, 0, v8, vcc
	v_mov_b32_e32 v10, s27
	v_add_co_u32_e32 v5, vcc, s26, v5
	s_cmpk_eq_i32 s38, 0x200
	v_addc_co_u32_e32 v6, vcc, v6, v10, vcc
	s_cselect_b64 s[2:3], -1, 0
.LBB11_58:                              ;   in Loop: Header=BB11_59 Depth=2
	s_and_b64 vcc, exec, s[2:3]
	s_cbranch_vccnz .LBB11_64
.LBB11_59:                              ;   Parent Loop BB11_54 Depth=1
                                        ; =>  This Inner Loop Header: Depth=2
	s_add_i32 s40, s49, s38
	s_cmp_ge_i32 s40, s9
	s_mov_b64 s[2:3], -1
	s_cbranch_scc1 .LBB11_58
; %bb.60:                               ;   in Loop: Header=BB11_59 Depth=2
	v_cmp_eq_u32_e32 vcc, s38, v0
	s_and_b64 s[42:43], s[34:35], vcc
	s_and_saveexec_b64 s[2:3], s[42:43]
	s_cbranch_execz .LBB11_62
; %bb.61:                               ;   in Loop: Header=BB11_59 Depth=2
	flat_load_dwordx2 v[14:15], v[5:6]
	ds_read_b64 v[16:17], v11
	s_waitcnt vmcnt(0) lgkmcnt(0)
	v_div_scale_f64 v[18:19], s[42:43], v[14:15], v[14:15], v[16:17]
	v_div_scale_f64 v[24:25], vcc, v[16:17], v[14:15], v[16:17]
	v_rcp_f64_e32 v[20:21], v[18:19]
	v_fma_f64 v[22:23], -v[18:19], v[20:21], 1.0
	v_fma_f64 v[20:21], v[20:21], v[22:23], v[20:21]
	v_fma_f64 v[22:23], -v[18:19], v[20:21], 1.0
	v_fma_f64 v[20:21], v[20:21], v[22:23], v[20:21]
	v_mul_f64 v[22:23], v[24:25], v[20:21]
	v_fma_f64 v[18:19], -v[18:19], v[22:23], v[24:25]
	v_div_fmas_f64 v[18:19], v[18:19], v[20:21], v[22:23]
	v_div_fixup_f64 v[14:15], v[18:19], v[14:15], v[16:17]
	ds_write_b64 v11, v[14:15]
.LBB11_62:                              ;   in Loop: Header=BB11_59 Depth=2
	s_or_b64 exec, exec, s[2:3]
	v_cmp_lt_u32_e32 vcc, s38, v0
	v_cmp_ge_i32_e64 s[2:3], s40, v9
	s_and_b64 s[40:41], s[36:37], vcc
	s_and_b64 s[40:41], s[40:41], s[2:3]
	s_waitcnt lgkmcnt(0)
	s_barrier
	s_and_saveexec_b64 s[2:3], s[40:41]
	s_cbranch_execz .LBB11_57
; %bb.63:                               ;   in Loop: Header=BB11_59 Depth=2
	flat_load_dwordx2 v[14:15], v[7:8]
	v_mov_b32_e32 v10, s39
	ds_read_b64 v[16:17], v10
	ds_read_b64 v[18:19], v11
	s_waitcnt vmcnt(0) lgkmcnt(0)
	v_fma_f64 v[14:15], -v[14:15], v[16:17], v[18:19]
	ds_write_b64 v11, v[14:15]
	s_branch .LBB11_57
.LBB11_64:                              ;   in Loop: Header=BB11_54 Depth=1
	s_add_i32 s50, s49, 0x200
	s_cmp_ge_i32 s50, s9
	s_cselect_b64 s[2:3], -1, 0
	s_and_b64 vcc, exec, s[2:3]
	s_waitcnt lgkmcnt(0)
	s_barrier
	s_cbranch_vccnz .LBB11_96
; %bb.65:                               ;   in Loop: Header=BB11_54 Depth=1
	v_mad_i64_i32 v[5:6], s[36:37], v12, -8, v[3:4]
	s_mov_b64 s[36:37], 0
	v_mov_b32_e32 v14, v0
	s_mov_b32 s51, s50
                                        ; implicit-def: $sgpr38_sgpr39
	s_branch .LBB11_68
.LBB11_66:                              ;   in Loop: Header=BB11_68 Depth=2
	v_mad_u64_u32 v[9:10], s[42:43], s6, v15, 0
	s_addk_i32 s51, 0x200
	s_cmp_ge_i32 s51, s9
	v_mad_u64_u32 v[15:16], s[42:43], s7, v15, v[10:11]
	v_mov_b32_e32 v16, s33
	s_cselect_b64 s[42:43], -1, 0
	v_mov_b32_e32 v10, v15
	v_lshlrev_b64 v[9:10], 3, v[9:10]
	v_mov_b32_e32 v17, s48
	v_add_co_u32_e32 v9, vcc, s8, v9
	v_addc_co_u32_e32 v10, vcc, v16, v10, vcc
	flat_load_dwordx2 v[15:16], v[9:10]
	v_add_co_u32_e32 v5, vcc, s47, v5
	s_andn2_b64 s[38:39], s[38:39], exec
	s_and_b64 s[42:43], s[42:43], exec
	v_addc_co_u32_e32 v6, vcc, v6, v17, vcc
	s_or_b64 s[38:39], s[38:39], s[42:43]
	s_waitcnt vmcnt(0) lgkmcnt(0)
	v_add_f64 v[7:8], v[15:16], -v[7:8]
	flat_store_dwordx2 v[9:10], v[7:8]
.LBB11_67:                              ;   in Loop: Header=BB11_68 Depth=2
	s_or_b64 exec, exec, s[40:41]
	s_and_b64 s[40:41], exec, s[38:39]
	s_or_b64 s[36:37], s[40:41], s[36:37]
	s_andn2_b64 exec, exec, s[36:37]
	s_cbranch_execz .LBB11_95
.LBB11_68:                              ;   Parent Loop BB11_54 Depth=1
                                        ; =>  This Loop Header: Depth=2
                                        ;       Child Loop BB11_71 Depth 3
	v_add_u32_e32 v15, s51, v0
	v_cmp_gt_i32_e32 vcc, s9, v15
	s_or_b64 s[38:39], s[38:39], exec
	s_and_saveexec_b64 s[40:41], vcc
	s_cbranch_execz .LBB11_67
; %bb.69:                               ;   in Loop: Header=BB11_68 Depth=2
	v_mov_b32_e32 v7, 0
	v_mov_b32_e32 v10, v6
	v_subrev_u32_e32 v16, s10, v15
	v_add_u32_e32 v17, 0x1fd, v14
	v_add_u32_e32 v18, 0x1fe, v14
	;; [unrolled: 1-line block ×4, first 2 shown]
	v_mov_b32_e32 v8, 0
	s_mov_b32 s52, 0
	s_movk_i32 s53, 0x1000
	v_mov_b32_e32 v9, v5
	s_branch .LBB11_71
.LBB11_70:                              ;   in Loop: Header=BB11_71 Depth=3
	s_or_b64 exec, exec, s[42:43]
	s_add_i32 s52, s52, 4
	s_add_i32 s53, s53, 32
	v_add_co_u32_e32 v9, vcc, 32, v9
	s_cmpk_eq_i32 s52, 0x200
	v_addc_co_u32_e32 v10, vcc, 0, v10, vcc
	s_cbranch_scc1 .LBB11_66
.LBB11_71:                              ;   Parent Loop BB11_54 Depth=1
                                        ;     Parent Loop BB11_68 Depth=2
                                        ; =>    This Inner Loop Header: Depth=3
	v_cmp_ne_u32_e32 vcc, s52, v14
	s_add_i32 s54, s49, s52
	s_or_b64 s[42:43], s[34:35], vcc
	s_and_saveexec_b64 s[44:45], s[42:43]
	s_xor_b64 s[42:43], exec, s[44:45]
	s_cbranch_execz .LBB11_75
; %bb.72:                               ;   in Loop: Header=BB11_71 Depth=3
	s_cmp_lt_i32 s54, s9
	s_cselect_b64 s[44:45], -1, 0
	v_cmp_ge_i32_e32 vcc, s54, v16
	s_and_b64 s[56:57], s[44:45], vcc
	s_and_saveexec_b64 s[44:45], s[56:57]
	s_cbranch_execz .LBB11_74
; %bb.73:                               ;   in Loop: Header=BB11_71 Depth=3
	flat_load_dwordx2 v[20:21], v[9:10]
	v_mov_b32_e32 v22, s53
	ds_read_b64 v[22:23], v22
	s_waitcnt vmcnt(0) lgkmcnt(0)
	v_fma_f64 v[7:8], v[20:21], v[22:23], v[7:8]
.LBB11_74:                              ;   in Loop: Header=BB11_71 Depth=3
	s_or_b64 exec, exec, s[44:45]
.LBB11_75:                              ;   in Loop: Header=BB11_71 Depth=3
	s_andn2_saveexec_b64 s[42:43], s[42:43]
	s_cbranch_execz .LBB11_77
; %bb.76:                               ;   in Loop: Header=BB11_71 Depth=3
	v_mov_b32_e32 v20, s53
	ds_read_b64 v[20:21], v20
	s_waitcnt lgkmcnt(0)
	v_add_f64 v[7:8], v[7:8], v[20:21]
.LBB11_77:                              ;   in Loop: Header=BB11_71 Depth=3
	s_or_b64 exec, exec, s[42:43]
	v_cmp_ne_u32_e32 vcc, s52, v19
	s_or_b64 s[42:43], s[34:35], vcc
	s_and_saveexec_b64 s[44:45], s[42:43]
	s_xor_b64 s[42:43], exec, s[44:45]
	s_cbranch_execz .LBB11_81
; %bb.78:                               ;   in Loop: Header=BB11_71 Depth=3
	s_add_i32 s55, s54, 1
	s_cmp_lt_i32 s55, s9
	s_cselect_b64 s[44:45], -1, 0
	v_cmp_ge_i32_e32 vcc, s55, v16
	s_and_b64 s[56:57], s[44:45], vcc
	s_and_saveexec_b64 s[44:45], s[56:57]
	s_cbranch_execz .LBB11_80
; %bb.79:                               ;   in Loop: Header=BB11_71 Depth=3
	flat_load_dwordx2 v[20:21], v[9:10] offset:8
	v_mov_b32_e32 v22, s53
	ds_read_b64 v[22:23], v22 offset:8
	s_waitcnt vmcnt(0) lgkmcnt(0)
	v_fma_f64 v[7:8], v[20:21], v[22:23], v[7:8]
.LBB11_80:                              ;   in Loop: Header=BB11_71 Depth=3
	s_or_b64 exec, exec, s[44:45]
.LBB11_81:                              ;   in Loop: Header=BB11_71 Depth=3
	s_andn2_saveexec_b64 s[42:43], s[42:43]
	s_cbranch_execz .LBB11_83
; %bb.82:                               ;   in Loop: Header=BB11_71 Depth=3
	v_mov_b32_e32 v20, s53
	ds_read_b64 v[20:21], v20 offset:8
	s_waitcnt lgkmcnt(0)
	v_add_f64 v[7:8], v[7:8], v[20:21]
.LBB11_83:                              ;   in Loop: Header=BB11_71 Depth=3
	s_or_b64 exec, exec, s[42:43]
	v_cmp_ne_u32_e32 vcc, s52, v18
	s_or_b64 s[42:43], s[34:35], vcc
	s_and_saveexec_b64 s[44:45], s[42:43]
	s_xor_b64 s[42:43], exec, s[44:45]
	s_cbranch_execz .LBB11_87
; %bb.84:                               ;   in Loop: Header=BB11_71 Depth=3
	s_add_i32 s55, s54, 2
	s_cmp_lt_i32 s55, s9
	s_cselect_b64 s[44:45], -1, 0
	v_cmp_ge_i32_e32 vcc, s55, v16
	s_and_b64 s[56:57], s[44:45], vcc
	s_and_saveexec_b64 s[44:45], s[56:57]
	s_cbranch_execz .LBB11_86
; %bb.85:                               ;   in Loop: Header=BB11_71 Depth=3
	flat_load_dwordx2 v[20:21], v[9:10] offset:16
	v_mov_b32_e32 v22, s53
	ds_read_b64 v[22:23], v22 offset:16
	s_waitcnt vmcnt(0) lgkmcnt(0)
	v_fma_f64 v[7:8], v[20:21], v[22:23], v[7:8]
.LBB11_86:                              ;   in Loop: Header=BB11_71 Depth=3
	s_or_b64 exec, exec, s[44:45]
.LBB11_87:                              ;   in Loop: Header=BB11_71 Depth=3
	s_andn2_saveexec_b64 s[42:43], s[42:43]
	s_cbranch_execz .LBB11_89
; %bb.88:                               ;   in Loop: Header=BB11_71 Depth=3
	v_mov_b32_e32 v20, s53
	ds_read_b64 v[20:21], v20 offset:16
	s_waitcnt lgkmcnt(0)
	v_add_f64 v[7:8], v[7:8], v[20:21]
.LBB11_89:                              ;   in Loop: Header=BB11_71 Depth=3
	s_or_b64 exec, exec, s[42:43]
	v_cmp_ne_u32_e32 vcc, s52, v17
	s_or_b64 s[42:43], s[34:35], vcc
	s_and_saveexec_b64 s[44:45], s[42:43]
	s_xor_b64 s[42:43], exec, s[44:45]
	s_cbranch_execz .LBB11_93
; %bb.90:                               ;   in Loop: Header=BB11_71 Depth=3
	s_add_i32 s54, s54, 3
	s_cmp_lt_i32 s54, s9
	s_cselect_b64 s[44:45], -1, 0
	v_cmp_ge_i32_e32 vcc, s54, v16
	s_and_b64 s[54:55], s[44:45], vcc
	s_and_saveexec_b64 s[44:45], s[54:55]
	s_cbranch_execz .LBB11_92
; %bb.91:                               ;   in Loop: Header=BB11_71 Depth=3
	flat_load_dwordx2 v[20:21], v[9:10] offset:24
	v_mov_b32_e32 v22, s53
	ds_read_b64 v[22:23], v22 offset:24
	s_waitcnt vmcnt(0) lgkmcnt(0)
	v_fma_f64 v[7:8], v[20:21], v[22:23], v[7:8]
.LBB11_92:                              ;   in Loop: Header=BB11_71 Depth=3
	s_or_b64 exec, exec, s[44:45]
.LBB11_93:                              ;   in Loop: Header=BB11_71 Depth=3
	s_andn2_saveexec_b64 s[42:43], s[42:43]
	s_cbranch_execz .LBB11_70
; %bb.94:                               ;   in Loop: Header=BB11_71 Depth=3
	v_mov_b32_e32 v20, s53
	ds_read_b64 v[20:21], v20 offset:24
	s_waitcnt lgkmcnt(0)
	v_add_f64 v[7:8], v[7:8], v[20:21]
	s_branch .LBB11_70
.LBB11_95:                              ;   in Loop: Header=BB11_54 Depth=1
	s_or_b64 exec, exec, s[36:37]
.LBB11_96:                              ;   in Loop: Header=BB11_54 Depth=1
	s_and_saveexec_b64 s[36:37], s[0:1]
	s_cbranch_execz .LBB11_53
; %bb.97:                               ;   in Loop: Header=BB11_54 Depth=1
	v_mad_u64_u32 v[5:6], s[0:1], s6, v13, 0
	v_mov_b32_e32 v9, s33
	v_mad_u64_u32 v[6:7], s[0:1], s7, v13, v[6:7]
	ds_read_b64 v[7:8], v11
	v_lshlrev_b64 v[5:6], 3, v[5:6]
	v_add_co_u32_e32 v5, vcc, s8, v5
	v_addc_co_u32_e32 v6, vcc, v9, v6, vcc
	s_waitcnt lgkmcnt(0)
	flat_store_dwordx2 v[5:6], v[7:8]
	s_branch .LBB11_53
.LBB11_98:
	s_mov_b64 s[0:1], 0
.LBB11_99:
	s_andn2_b64 vcc, exec, s[0:1]
	s_cbranch_vccnz .LBB11_173
; %bb.100:
	s_mov_b64 s[0:1], -1
	s_and_b64 vcc, exec, s[24:25]
	s_cbranch_vccz .LBB11_137
; %bb.101:
	s_andn2_b64 vcc, exec, s[22:23]
	s_cbranch_vccnz .LBB11_136
; %bb.102:
	s_lshl_b64 s[24:25], s[16:17], 12
	s_lshl_b64 s[26:27], s[16:17], 3
	s_add_u32 s28, s12, s26
	s_addc_u32 s29, s13, s27
	s_lshl_b64 s[0:1], s[16:17], 4
	s_add_u32 s11, s0, -16
	v_lshlrev_b32_e32 v9, 3, v0
	v_or_b32_e32 v10, 0x200, v0
	s_addc_u32 s58, s1, -1
	s_mov_b32 s59, 0
	s_mov_b64 s[30:31], -1
	s_mov_b64 s[34:35], 0
	s_xor_b64 s[36:37], s[18:19], -1
	v_mov_b32_e32 v2, 0
	s_mov_b64 s[38:39], 0
	s_mov_b64 s[40:41], s[4:5]
	s_branch .LBB11_104
.LBB11_103:                             ;   in Loop: Header=BB11_104 Depth=1
	s_or_b64 exec, exec, s[42:43]
	s_add_u32 s40, s40, s24
	s_addc_u32 s41, s41, s25
	s_add_u32 s30, s30, 0xfffffe00
	s_addc_u32 s31, s31, -1
	s_add_u32 s38, s38, s24
	s_addc_u32 s39, s39, s25
	s_add_u32 s34, s34, 0xfffffe00
	v_add_u32_e32 v10, 0x200, v10
	s_addc_u32 s35, s35, -1
	s_and_b64 vcc, exec, s[2:3]
	s_mov_b32 s59, s60
	s_waitcnt vmcnt(0) lgkmcnt(0)
	s_barrier
	s_cbranch_vccnz .LBB11_136
.LBB11_104:                             ; =>This Loop Header: Depth=1
                                        ;     Child Loop BB11_108 Depth 2
                                        ;     Child Loop BB11_118 Depth 2
                                        ;       Child Loop BB11_121 Depth 3
	v_add_u32_e32 v11, s59, v0
	v_cmp_le_i32_e32 vcc, s9, v11
	v_cmp_gt_i32_e64 s[0:1], s9, v11
	s_and_saveexec_b64 s[42:43], s[0:1]
	s_cbranch_execz .LBB11_106
; %bb.105:                              ;   in Loop: Header=BB11_104 Depth=1
	v_mad_u64_u32 v[3:4], s[2:3], s6, v11, 0
	v_mov_b32_e32 v1, v4
	v_mad_u64_u32 v[4:5], s[2:3], s7, v11, v[1:2]
	v_mov_b32_e32 v1, s33
	v_lshlrev_b64 v[3:4], 3, v[3:4]
	v_add_co_u32_e64 v3, s[2:3], s8, v3
	v_addc_co_u32_e64 v4, s[2:3], v1, v4, s[2:3]
	flat_load_dwordx2 v[3:4], v[3:4]
	s_waitcnt vmcnt(0) lgkmcnt(0)
	ds_write_b64 v9, v[3:4]
.LBB11_106:                             ;   in Loop: Header=BB11_104 Depth=1
	s_or_b64 exec, exec, s[42:43]
	v_subrev_u32_e32 v3, s10, v11
	s_mov_b32 s46, 0
	s_xor_b64 s[42:43], vcc, -1
	s_mov_b64 s[44:45], s[40:41]
	v_mov_b32_e32 v1, v0
	s_mov_b32 s47, 0
	s_waitcnt lgkmcnt(0)
	s_barrier
	s_branch .LBB11_108
.LBB11_107:                             ;   in Loop: Header=BB11_108 Depth=2
	s_or_b64 exec, exec, s[2:3]
	s_add_i32 s47, s47, 1
	s_add_i32 s46, s46, 8
	s_add_u32 s44, s44, s26
	s_addc_u32 s45, s45, s27
	s_cmpk_eq_i32 s47, 0x200
	v_add_u32_e32 v1, -1, v1
	s_cselect_b64 s[2:3], -1, 0
	s_and_b64 vcc, exec, s[2:3]
	s_cbranch_vccnz .LBB11_114
.LBB11_108:                             ;   Parent Loop BB11_104 Depth=1
                                        ; =>  This Inner Loop Header: Depth=2
	s_add_i32 s48, s59, s47
	s_cmp_ge_i32 s48, s9
	s_cbranch_scc1 .LBB11_113
; %bb.109:                              ;   in Loop: Header=BB11_108 Depth=2
	v_cmp_eq_u32_e32 vcc, s47, v0
	s_and_b64 s[50:51], s[36:37], vcc
	s_and_saveexec_b64 s[2:3], s[50:51]
	s_cbranch_execz .LBB11_111
; %bb.110:                              ;   in Loop: Header=BB11_108 Depth=2
	v_mov_b32_e32 v4, s44
	v_mov_b32_e32 v5, s45
	flat_load_dwordx2 v[4:5], v[4:5]
	ds_read_b64 v[6:7], v9
	s_waitcnt vmcnt(0) lgkmcnt(0)
	v_div_scale_f64 v[12:13], s[50:51], v[4:5], v[4:5], v[6:7]
	v_div_scale_f64 v[18:19], vcc, v[6:7], v[4:5], v[6:7]
	v_rcp_f64_e32 v[14:15], v[12:13]
	v_fma_f64 v[16:17], -v[12:13], v[14:15], 1.0
	v_fma_f64 v[14:15], v[14:15], v[16:17], v[14:15]
	v_fma_f64 v[16:17], -v[12:13], v[14:15], 1.0
	v_fma_f64 v[14:15], v[14:15], v[16:17], v[14:15]
	v_mul_f64 v[16:17], v[18:19], v[14:15]
	v_fma_f64 v[12:13], -v[12:13], v[16:17], v[18:19]
	v_div_fmas_f64 v[12:13], v[12:13], v[14:15], v[16:17]
	v_div_fixup_f64 v[4:5], v[12:13], v[4:5], v[6:7]
	ds_write_b64 v9, v[4:5]
.LBB11_111:                             ;   in Loop: Header=BB11_108 Depth=2
	s_or_b64 exec, exec, s[2:3]
	v_cmp_lt_u32_e32 vcc, s47, v0
	v_cmp_ge_i32_e64 s[2:3], s48, v3
	s_and_b64 s[48:49], s[42:43], vcc
	s_and_b64 s[48:49], s[48:49], s[2:3]
	s_waitcnt lgkmcnt(0)
	s_barrier
	s_and_saveexec_b64 s[2:3], s[48:49]
	s_cbranch_execz .LBB11_107
; %bb.112:                              ;   in Loop: Header=BB11_108 Depth=2
	v_lshlrev_b64 v[4:5], 3, v[1:2]
	v_mov_b32_e32 v6, s45
	v_add_co_u32_e32 v4, vcc, s44, v4
	v_addc_co_u32_e32 v5, vcc, v6, v5, vcc
	flat_load_dwordx2 v[4:5], v[4:5]
	v_mov_b32_e32 v6, s46
	ds_read_b64 v[6:7], v6
	ds_read_b64 v[12:13], v9
	s_waitcnt vmcnt(0) lgkmcnt(0)
	v_fma_f64 v[4:5], -v[4:5], v[6:7], v[12:13]
	ds_write_b64 v9, v[4:5]
	s_branch .LBB11_107
.LBB11_113:                             ;   in Loop: Header=BB11_108 Depth=2
                                        ; implicit-def: $sgpr47
                                        ; implicit-def: $sgpr46
                                        ; implicit-def: $sgpr44_sgpr45
	s_cbranch_execz .LBB11_108
.LBB11_114:                             ;   in Loop: Header=BB11_104 Depth=1
	s_add_i32 s60, s59, 0x200
	s_cmp_ge_i32 s60, s9
	s_cselect_b64 s[2:3], -1, 0
	s_and_b64 vcc, exec, s[2:3]
	s_waitcnt lgkmcnt(0)
	s_barrier
	s_cbranch_vccnz .LBB11_134
; %bb.115:                              ;   in Loop: Header=BB11_104 Depth=1
	v_ashrrev_i32_e32 v1, 31, v10
	v_mov_b32_e32 v4, s31
	v_add_co_u32_e32 v3, vcc, s30, v10
	v_addc_co_u32_e32 v4, vcc, v4, v1, vcc
	v_mov_b32_e32 v6, s35
	v_add_co_u32_e32 v5, vcc, s34, v10
	v_addc_co_u32_e32 v6, vcc, v6, v1, vcc
	v_lshlrev_b64 v[3:4], 3, v[3:4]
	v_lshlrev_b64 v[5:6], 3, v[5:6]
	s_mov_b64 s[42:43], 0
	s_mov_b64 s[44:45], s[38:39]
	v_mov_b32_e32 v1, v0
	s_mov_b32 s61, s60
                                        ; implicit-def: $sgpr46_sgpr47
	s_branch .LBB11_118
.LBB11_116:                             ;   in Loop: Header=BB11_118 Depth=2
	v_mad_u64_u32 v[13:14], s[50:51], s6, v12, 0
	s_addk_i32 s61, 0x200
	s_add_u32 s44, s44, 0x1000
	v_mad_u64_u32 v[14:15], s[50:51], s7, v12, v[14:15]
	v_mov_b32_e32 v15, s33
	s_addc_u32 s45, s45, 0
	v_lshlrev_b64 v[12:13], 3, v[13:14]
	s_cmp_ge_i32 s61, s9
	v_add_co_u32_e32 v12, vcc, s8, v12
	v_addc_co_u32_e32 v13, vcc, v15, v13, vcc
	flat_load_dwordx2 v[14:15], v[12:13]
	s_cselect_b64 s[50:51], -1, 0
	s_andn2_b64 s[46:47], s[46:47], exec
	s_and_b64 s[50:51], s[50:51], exec
	s_or_b64 s[46:47], s[46:47], s[50:51]
	s_waitcnt vmcnt(0) lgkmcnt(0)
	v_add_f64 v[7:8], v[14:15], -v[7:8]
	flat_store_dwordx2 v[12:13], v[7:8]
.LBB11_117:                             ;   in Loop: Header=BB11_118 Depth=2
	s_or_b64 exec, exec, s[48:49]
	s_and_b64 s[48:49], exec, s[46:47]
	s_or_b64 s[42:43], s[48:49], s[42:43]
	s_andn2_b64 exec, exec, s[42:43]
	s_cbranch_execz .LBB11_133
.LBB11_118:                             ;   Parent Loop BB11_104 Depth=1
                                        ; =>  This Loop Header: Depth=2
                                        ;       Child Loop BB11_121 Depth 3
	v_add_u32_e32 v12, s61, v0
	v_cmp_gt_i32_e32 vcc, s9, v12
	s_or_b64 s[46:47], s[46:47], exec
	s_and_saveexec_b64 s[48:49], vcc
	s_cbranch_execz .LBB11_117
; %bb.119:                              ;   in Loop: Header=BB11_118 Depth=2
	v_mov_b32_e32 v7, 0
	v_subrev_u32_e32 v13, s10, v12
	v_add_u32_e32 v14, 0x1ff, v1
	v_add_u32_e32 v1, 0x200, v1
	v_mov_b32_e32 v8, 0
	s_mov_b32 s62, 0
	s_mov_b64 s[50:51], s[12:13]
	s_mov_b64 s[52:53], s[28:29]
	s_mov_b32 s63, 0
	s_branch .LBB11_121
.LBB11_120:                             ;   in Loop: Header=BB11_121 Depth=3
	s_or_b64 exec, exec, s[54:55]
	s_add_i32 s63, s63, 2
	s_add_u32 s52, s52, s11
	s_addc_u32 s53, s53, s58
	s_add_i32 s62, s62, 16
	s_add_u32 s50, s50, s11
	s_addc_u32 s51, s51, s58
	s_cmpk_eq_i32 s63, 0x200
	s_cbranch_scc1 .LBB11_116
.LBB11_121:                             ;   Parent Loop BB11_104 Depth=1
                                        ;     Parent Loop BB11_118 Depth=2
                                        ; =>    This Inner Loop Header: Depth=3
	v_cmp_ne_u32_e32 vcc, s63, v1
	s_add_i32 s64, s59, s63
	s_or_b64 s[54:55], s[36:37], vcc
	s_and_saveexec_b64 s[56:57], s[54:55]
	s_xor_b64 s[54:55], exec, s[56:57]
	s_cbranch_execz .LBB11_125
; %bb.122:                              ;   in Loop: Header=BB11_121 Depth=3
	s_cmp_lt_i32 s64, s9
	s_cselect_b64 s[56:57], -1, 0
	v_cmp_ge_i32_e32 vcc, s64, v13
	s_and_b64 s[66:67], s[56:57], vcc
	s_and_saveexec_b64 s[56:57], s[66:67]
	s_cbranch_execz .LBB11_124
; %bb.123:                              ;   in Loop: Header=BB11_121 Depth=3
	s_add_u32 s65, s50, s20
	s_addc_u32 s66, s51, s21
	v_mov_b32_e32 v15, s66
	v_add_co_u32_e32 v16, vcc, s65, v5
	v_addc_co_u32_e32 v17, vcc, v15, v6, vcc
	v_mov_b32_e32 v18, s45
	v_add_co_u32_e32 v15, vcc, s44, v16
	v_addc_co_u32_e32 v16, vcc, v17, v18, vcc
	flat_load_dwordx2 v[15:16], v[15:16]
	v_mov_b32_e32 v17, s62
	ds_read_b64 v[17:18], v17
	s_waitcnt vmcnt(0) lgkmcnt(0)
	v_fma_f64 v[7:8], v[15:16], v[17:18], v[7:8]
.LBB11_124:                             ;   in Loop: Header=BB11_121 Depth=3
	s_or_b64 exec, exec, s[56:57]
.LBB11_125:                             ;   in Loop: Header=BB11_121 Depth=3
	s_andn2_saveexec_b64 s[54:55], s[54:55]
	s_cbranch_execz .LBB11_127
; %bb.126:                              ;   in Loop: Header=BB11_121 Depth=3
	v_mov_b32_e32 v15, s62
	ds_read_b64 v[15:16], v15
	s_waitcnt lgkmcnt(0)
	v_add_f64 v[7:8], v[7:8], v[15:16]
.LBB11_127:                             ;   in Loop: Header=BB11_121 Depth=3
	s_or_b64 exec, exec, s[54:55]
	v_cmp_ne_u32_e32 vcc, s63, v14
	s_or_b64 s[54:55], s[36:37], vcc
	s_and_saveexec_b64 s[56:57], s[54:55]
	s_xor_b64 s[54:55], exec, s[56:57]
	s_cbranch_execz .LBB11_131
; %bb.128:                              ;   in Loop: Header=BB11_121 Depth=3
	s_add_i32 s64, s64, 1
	s_cmp_lt_i32 s64, s9
	s_cselect_b64 s[56:57], -1, 0
	v_cmp_ge_i32_e32 vcc, s64, v13
	s_and_b64 s[64:65], s[56:57], vcc
	s_and_saveexec_b64 s[56:57], s[64:65]
	s_cbranch_execz .LBB11_130
; %bb.129:                              ;   in Loop: Header=BB11_121 Depth=3
	s_add_u32 s64, s52, s20
	s_addc_u32 s65, s53, s21
	v_mov_b32_e32 v15, s65
	v_add_co_u32_e32 v16, vcc, s64, v3
	v_addc_co_u32_e32 v17, vcc, v15, v4, vcc
	v_mov_b32_e32 v18, s45
	v_add_co_u32_e32 v15, vcc, s44, v16
	v_addc_co_u32_e32 v16, vcc, v17, v18, vcc
	flat_load_dwordx2 v[15:16], v[15:16]
	v_mov_b32_e32 v17, s62
	ds_read_b64 v[17:18], v17 offset:8
	s_waitcnt vmcnt(0) lgkmcnt(0)
	v_fma_f64 v[7:8], v[15:16], v[17:18], v[7:8]
.LBB11_130:                             ;   in Loop: Header=BB11_121 Depth=3
	s_or_b64 exec, exec, s[56:57]
.LBB11_131:                             ;   in Loop: Header=BB11_121 Depth=3
	s_andn2_saveexec_b64 s[54:55], s[54:55]
	s_cbranch_execz .LBB11_120
; %bb.132:                              ;   in Loop: Header=BB11_121 Depth=3
	v_mov_b32_e32 v15, s62
	ds_read_b64 v[15:16], v15 offset:8
	s_waitcnt lgkmcnt(0)
	v_add_f64 v[7:8], v[7:8], v[15:16]
	s_branch .LBB11_120
.LBB11_133:                             ;   in Loop: Header=BB11_104 Depth=1
	s_or_b64 exec, exec, s[42:43]
.LBB11_134:                             ;   in Loop: Header=BB11_104 Depth=1
	s_and_saveexec_b64 s[42:43], s[0:1]
	s_cbranch_execz .LBB11_103
; %bb.135:                              ;   in Loop: Header=BB11_104 Depth=1
	v_mad_u64_u32 v[3:4], s[0:1], s6, v11, 0
	v_mov_b32_e32 v1, v4
	v_mad_u64_u32 v[4:5], s[0:1], s7, v11, v[1:2]
	ds_read_b64 v[5:6], v9
	v_mov_b32_e32 v1, s33
	v_lshlrev_b64 v[3:4], 3, v[3:4]
	v_add_co_u32_e32 v3, vcc, s8, v3
	v_addc_co_u32_e32 v4, vcc, v1, v4, vcc
	s_waitcnt lgkmcnt(0)
	flat_store_dwordx2 v[3:4], v[5:6]
	s_branch .LBB11_103
.LBB11_136:
	s_mov_b64 s[0:1], 0
.LBB11_137:
	s_andn2_b64 vcc, exec, s[0:1]
	s_cbranch_vccnz .LBB11_173
; %bb.138:
	s_andn2_b64 vcc, exec, s[22:23]
	s_cbranch_vccnz .LBB11_173
; %bb.139:
	s_ashr_i32 s11, s10, 31
	s_add_i32 s26, s9, 0xfffffe00
	s_add_i32 s22, s9, -1
	s_lshl_b64 s[0:1], s[10:11], 3
	s_add_u32 s2, s20, s0
	s_addc_u32 s3, s21, s1
	s_ashr_i32 s23, s22, 31
	s_lshl_b64 s[0:1], s[22:23], 3
	s_sub_u32 s0, s2, s0
	s_subb_u32 s1, s3, s1
	s_add_u32 s20, s12, s0
	s_addc_u32 s21, s13, s1
	s_lshl_b64 s[24:25], s[16:17], 3
	s_add_u32 s23, s24, 8
	s_addc_u32 s36, s25, 0
	s_sub_i32 s0, s10, s9
	s_add_i32 s37, s0, 0x1ff
	s_add_u32 s0, s14, s10
	s_addc_u32 s1, s15, s11
	s_ashr_i32 s3, s9, 31
	s_mov_b32 s2, s9
	s_lshl_b64 s[0:1], s[0:1], 3
	s_lshl_b64 s[2:3], s[2:3], 3
	s_sub_u32 s0, s0, s2
	s_subb_u32 s1, s1, s3
	s_add_u32 s0, s12, s0
	s_addc_u32 s1, s13, s1
	s_add_u32 s11, s0, 0x1000
	s_addc_u32 s38, s1, 0
	s_lshl_b64 s[0:1], s[16:17], 4
	v_mov_b32_e32 v1, 0x2000
	v_add_u32_e32 v2, s9, v0
	s_add_u32 s39, s0, -16
	v_lshl_or_b32 v9, v0, 3, v1
	v_add_u32_e32 v1, 0xfffffe00, v2
	v_add_u32_e32 v10, 0xfffffc00, v2
	s_addc_u32 s40, s1, -1
	v_mov_b32_e32 v3, 0
	s_xor_b64 s[12:13], s[18:19], -1
	s_branch .LBB11_141
.LBB11_140:                             ;   in Loop: Header=BB11_141 Depth=1
	s_or_b64 exec, exec, s[14:15]
	s_addk_i32 s22, 0xfe00
	s_add_u32 s20, s20, 0x1000
	s_addc_u32 s21, s21, 0
	s_addk_i32 s9, 0xfe00
	s_addk_i32 s37, 0x200
	s_add_u32 s11, s11, 0x1000
	v_add_u32_e32 v1, 0xfffffe00, v1
	s_addc_u32 s38, s38, 0
	v_add_u32_e32 v10, 0xfffffe00, v10
	s_and_b64 vcc, exec, s[2:3]
	s_mov_b32 s26, s41
	s_waitcnt vmcnt(0) lgkmcnt(0)
	s_barrier
	s_cbranch_vccnz .LBB11_173
.LBB11_141:                             ; =>This Loop Header: Depth=1
                                        ;     Child Loop BB11_146 Depth 2
                                        ;     Child Loop BB11_155 Depth 2
                                        ;       Child Loop BB11_158 Depth 3
	v_add_u32_e32 v11, s26, v0
	v_cmp_gt_i32_e32 vcc, 0, v11
	v_cmp_lt_i32_e64 s[0:1], -1, v11
	s_and_saveexec_b64 s[14:15], s[0:1]
	s_cbranch_execz .LBB11_143
; %bb.142:                              ;   in Loop: Header=BB11_141 Depth=1
	v_mad_u64_u32 v[4:5], s[2:3], s6, v11, 0
	v_mov_b32_e32 v2, v5
	v_mad_u64_u32 v[5:6], s[2:3], s7, v11, v[2:3]
	v_mov_b32_e32 v2, s33
	v_lshlrev_b64 v[4:5], 3, v[4:5]
	v_add_co_u32_e64 v4, s[2:3], s8, v4
	v_addc_co_u32_e64 v5, s[2:3], v2, v5, s[2:3]
	flat_load_dwordx2 v[4:5], v[4:5]
	s_waitcnt vmcnt(0) lgkmcnt(0)
	ds_write_b64 v9, v[4:5]
.LBB11_143:                             ;   in Loop: Header=BB11_141 Depth=1
	s_or_b64 exec, exec, s[14:15]
	v_mov_b32_e32 v2, v3
	v_lshlrev_b64 v[4:5], 3, v[1:2]
	v_mov_b32_e32 v2, s21
	v_add_co_u32_e64 v4, s[2:3], s20, v4
	v_mov_b32_e32 v6, s20
	v_addc_co_u32_e64 v5, s[2:3], v2, v5, s[2:3]
	v_add_u32_e32 v2, s10, v11
	s_movk_i32 s18, 0x1ff
	s_movk_i32 s19, 0x2ff8
	v_mov_b32_e32 v7, s21
	s_xor_b64 s[14:15], vcc, -1
	s_mov_b32 s27, s22
	s_waitcnt lgkmcnt(0)
	s_barrier
	s_branch .LBB11_146
.LBB11_144:                             ;   in Loop: Header=BB11_146 Depth=2
	s_or_b64 exec, exec, s[2:3]
	v_add_co_u32_e32 v4, vcc, 8, v4
	s_add_i32 s18, s18, -1
	s_add_i32 s19, s19, -8
	v_addc_co_u32_e32 v5, vcc, 0, v5, vcc
	s_add_i32 s27, s27, -1
	v_add_co_u32_e32 v6, vcc, 8, v6
	s_cmp_eq_u32 s18, -1
	v_addc_co_u32_e32 v7, vcc, 0, v7, vcc
	s_cselect_b64 s[2:3], -1, 0
.LBB11_145:                             ;   in Loop: Header=BB11_146 Depth=2
	s_and_b64 vcc, exec, s[2:3]
	s_cbranch_vccnz .LBB11_151
.LBB11_146:                             ;   Parent Loop BB11_141 Depth=1
                                        ; =>  This Inner Loop Header: Depth=2
	s_add_i32 s28, s22, s18
	s_addk_i32 s28, 0xfe01
	s_cmp_lt_i32 s28, 0
	s_mov_b64 s[2:3], -1
	s_cbranch_scc1 .LBB11_145
; %bb.147:                              ;   in Loop: Header=BB11_146 Depth=2
	v_cmp_eq_u32_e32 vcc, s18, v0
	s_and_b64 s[30:31], s[12:13], vcc
	s_and_saveexec_b64 s[2:3], s[30:31]
	s_cbranch_execz .LBB11_149
; %bb.148:                              ;   in Loop: Header=BB11_146 Depth=2
	s_mul_i32 s29, s36, s27
	s_mul_hi_u32 s30, s23, s27
	s_add_i32 s29, s30, s29
	s_mul_i32 s30, s23, s27
	v_mov_b32_e32 v8, s29
	v_add_co_u32_e32 v12, vcc, s30, v6
	v_addc_co_u32_e32 v13, vcc, v7, v8, vcc
	flat_load_dwordx2 v[12:13], v[12:13]
	ds_read_b64 v[14:15], v9
	s_waitcnt vmcnt(0) lgkmcnt(0)
	v_div_scale_f64 v[16:17], s[30:31], v[12:13], v[12:13], v[14:15]
	v_div_scale_f64 v[22:23], vcc, v[14:15], v[12:13], v[14:15]
	v_rcp_f64_e32 v[18:19], v[16:17]
	v_fma_f64 v[20:21], -v[16:17], v[18:19], 1.0
	v_fma_f64 v[18:19], v[18:19], v[20:21], v[18:19]
	v_fma_f64 v[20:21], -v[16:17], v[18:19], 1.0
	v_fma_f64 v[18:19], v[18:19], v[20:21], v[18:19]
	v_mul_f64 v[20:21], v[22:23], v[18:19]
	v_fma_f64 v[16:17], -v[16:17], v[20:21], v[22:23]
	v_div_fmas_f64 v[16:17], v[16:17], v[18:19], v[20:21]
	v_div_fixup_f64 v[12:13], v[16:17], v[12:13], v[14:15]
	ds_write_b64 v9, v[12:13]
.LBB11_149:                             ;   in Loop: Header=BB11_146 Depth=2
	s_or_b64 exec, exec, s[2:3]
	v_cmp_gt_u32_e32 vcc, s18, v0
	v_cmp_le_i32_e64 s[2:3], s28, v2
	s_and_b64 s[28:29], s[14:15], vcc
	s_and_b64 s[28:29], s[28:29], s[2:3]
	s_waitcnt lgkmcnt(0)
	s_barrier
	s_and_saveexec_b64 s[2:3], s[28:29]
	s_cbranch_execz .LBB11_144
; %bb.150:                              ;   in Loop: Header=BB11_146 Depth=2
	v_mov_b32_e32 v8, s27
	v_mad_u64_u32 v[12:13], s[28:29], s24, v8, v[4:5]
	s_mul_i32 s28, s25, s27
	v_mov_b32_e32 v8, s19
	v_add_u32_e32 v13, s28, v13
	flat_load_dwordx2 v[12:13], v[12:13]
	ds_read_b64 v[14:15], v8
	ds_read_b64 v[16:17], v9
	s_waitcnt vmcnt(0) lgkmcnt(0)
	v_fma_f64 v[12:13], -v[12:13], v[14:15], v[16:17]
	ds_write_b64 v9, v[12:13]
	s_branch .LBB11_144
.LBB11_151:                             ;   in Loop: Header=BB11_141 Depth=1
	s_add_i32 s41, s26, 0xfffffe00
	s_cmp_lt_i32 s26, 1
	s_cselect_b64 s[2:3], -1, 0
	s_and_b64 vcc, exec, s[2:3]
	s_waitcnt lgkmcnt(0)
	s_barrier
	s_cbranch_vccnz .LBB11_171
; %bb.152:                              ;   in Loop: Header=BB11_141 Depth=1
	s_mul_i32 s14, s25, s26
	s_mul_hi_u32 s15, s24, s26
	s_add_i32 s15, s15, s14
	s_mul_i32 s14, s24, s26
	s_add_u32 s42, s11, s14
	s_addc_u32 s43, s38, s15
	s_mov_b64 s[14:15], 0
	v_mov_b32_e32 v4, v10
	v_mov_b32_e32 v12, v0
	s_mov_b32 s44, s41
                                        ; implicit-def: $sgpr18_sgpr19
	s_branch .LBB11_155
.LBB11_153:                             ;   in Loop: Header=BB11_155 Depth=2
	v_mad_u64_u32 v[7:8], s[28:29], s6, v2, 0
	s_add_i32 s30, s44, 0xfffffe00
	s_cmp_lt_i32 s44, 1
	v_mad_u64_u32 v[13:14], s[28:29], s7, v2, v[8:9]
	v_mov_b32_e32 v2, s33
	s_cselect_b64 s[28:29], -1, 0
	v_mov_b32_e32 v8, v13
	v_lshlrev_b64 v[7:8], 3, v[7:8]
	s_andn2_b64 s[18:19], s[18:19], exec
	v_add_co_u32_e32 v7, vcc, s8, v7
	v_addc_co_u32_e32 v8, vcc, v2, v8, vcc
	flat_load_dwordx2 v[13:14], v[7:8]
	s_and_b64 s[28:29], s[28:29], exec
	v_add_u32_e32 v4, 0xfffffe00, v4
	s_or_b64 s[18:19], s[18:19], s[28:29]
	s_mov_b32 s44, s30
	s_waitcnt vmcnt(0) lgkmcnt(0)
	v_add_f64 v[5:6], v[13:14], -v[5:6]
	flat_store_dwordx2 v[7:8], v[5:6]
.LBB11_154:                             ;   in Loop: Header=BB11_155 Depth=2
	s_or_b64 exec, exec, s[26:27]
	s_and_b64 s[26:27], exec, s[18:19]
	s_or_b64 s[14:15], s[26:27], s[14:15]
	s_andn2_b64 exec, exec, s[14:15]
	s_cbranch_execz .LBB11_170
.LBB11_155:                             ;   Parent Loop BB11_141 Depth=1
                                        ; =>  This Loop Header: Depth=2
                                        ;       Child Loop BB11_158 Depth 3
	v_add_u32_e32 v2, s44, v0
	v_cmp_lt_i32_e32 vcc, -1, v2
	s_or_b64 s[18:19], s[18:19], exec
	s_and_saveexec_b64 s[26:27], vcc
	s_cbranch_execz .LBB11_154
; %bb.156:                              ;   in Loop: Header=BB11_155 Depth=2
	v_mov_b32_e32 v5, v3
	v_lshlrev_b64 v[5:6], 3, v[4:5]
	v_mov_b32_e32 v8, s43
	v_add_co_u32_e32 v7, vcc, s42, v5
	v_addc_co_u32_e32 v8, vcc, v8, v6, vcc
	v_lshlrev_b64 v[5:6], 3, v[2:3]
	v_mov_b32_e32 v15, s5
	v_add_co_u32_e32 v14, vcc, s4, v5
	v_addc_co_u32_e32 v15, vcc, v15, v6, vcc
	v_mov_b32_e32 v5, 0
	v_add_u32_e32 v13, s10, v2
	v_add_u32_e32 v16, 0xfffffdff, v12
	;; [unrolled: 1-line block ×3, first 2 shown]
	v_mov_b32_e32 v6, 0
	s_mov_b32 s45, 0
	s_movk_i32 s46, 0x2000
	s_mov_b32 s28, s37
	s_branch .LBB11_158
.LBB11_157:                             ;   in Loop: Header=BB11_158 Depth=3
	s_or_b64 exec, exec, s[30:31]
	s_add_i32 s45, s45, 2
	s_add_i32 s46, s46, 16
	s_add_i32 s28, s28, -2
	v_mov_b32_e32 v17, s40
	v_add_co_u32_e32 v7, vcc, s39, v7
	s_cmpk_eq_i32 s45, 0x200
	v_addc_co_u32_e32 v8, vcc, v8, v17, vcc
	s_cbranch_scc1 .LBB11_153
.LBB11_158:                             ;   Parent Loop BB11_141 Depth=1
                                        ;     Parent Loop BB11_155 Depth=2
                                        ; =>    This Inner Loop Header: Depth=3
	v_cmp_ne_u32_e32 vcc, s45, v12
	s_add_i32 s29, s9, s45
	s_or_b64 s[30:31], s[12:13], vcc
	s_and_saveexec_b64 s[34:35], s[30:31]
	s_xor_b64 s[30:31], exec, s[34:35]
	s_cbranch_execz .LBB11_162
; %bb.159:                              ;   in Loop: Header=BB11_158 Depth=3
	s_add_i32 s34, s29, 0xfffffe00
	v_cmp_le_i32_e32 vcc, s34, v13
	s_and_saveexec_b64 s[34:35], vcc
	s_cbranch_execz .LBB11_161
; %bb.160:                              ;   in Loop: Header=BB11_158 Depth=3
	flat_load_dwordx2 v[17:18], v[7:8]
	v_mov_b32_e32 v19, s46
	ds_read_b64 v[19:20], v19
	s_waitcnt vmcnt(0) lgkmcnt(0)
	v_fma_f64 v[5:6], v[17:18], v[19:20], v[5:6]
.LBB11_161:                             ;   in Loop: Header=BB11_158 Depth=3
	s_or_b64 exec, exec, s[34:35]
.LBB11_162:                             ;   in Loop: Header=BB11_158 Depth=3
	s_andn2_saveexec_b64 s[30:31], s[30:31]
	s_cbranch_execz .LBB11_164
; %bb.163:                              ;   in Loop: Header=BB11_158 Depth=3
	v_mov_b32_e32 v17, s46
	ds_read_b64 v[17:18], v17
	s_waitcnt lgkmcnt(0)
	v_add_f64 v[5:6], v[5:6], v[17:18]
.LBB11_164:                             ;   in Loop: Header=BB11_158 Depth=3
	s_or_b64 exec, exec, s[30:31]
	v_cmp_ne_u32_e32 vcc, s45, v16
	s_or_b64 s[30:31], s[12:13], vcc
	s_and_saveexec_b64 s[34:35], s[30:31]
	s_xor_b64 s[30:31], exec, s[34:35]
	s_cbranch_execz .LBB11_168
; %bb.165:                              ;   in Loop: Header=BB11_158 Depth=3
	s_add_i32 s47, s29, 0xfffffe01
	v_cmp_le_i32_e32 vcc, s47, v13
	s_and_saveexec_b64 s[34:35], vcc
	s_cbranch_execz .LBB11_167
; %bb.166:                              ;   in Loop: Header=BB11_158 Depth=3
	s_mul_i32 s48, s17, s47
	s_mul_hi_u32 s49, s16, s47
	s_add_i32 s49, s49, s48
	s_mul_i32 s48, s16, s47
	s_lshl_b64 s[48:49], s[48:49], 3
	s_ashr_i32 s29, s28, 31
	v_mov_b32_e32 v17, s49
	v_add_co_u32_e32 v18, vcc, s48, v14
	v_addc_co_u32_e32 v19, vcc, v15, v17, vcc
	s_lshl_b64 s[48:49], s[28:29], 3
	v_mov_b32_e32 v20, s49
	v_add_co_u32_e32 v17, vcc, s48, v18
	v_addc_co_u32_e32 v18, vcc, v19, v20, vcc
	flat_load_dwordx2 v[17:18], v[17:18]
	v_mov_b32_e32 v19, s46
	ds_read_b64 v[19:20], v19 offset:8
	s_waitcnt vmcnt(0) lgkmcnt(0)
	v_fma_f64 v[5:6], v[17:18], v[19:20], v[5:6]
.LBB11_167:                             ;   in Loop: Header=BB11_158 Depth=3
	s_or_b64 exec, exec, s[34:35]
.LBB11_168:                             ;   in Loop: Header=BB11_158 Depth=3
	s_andn2_saveexec_b64 s[30:31], s[30:31]
	s_cbranch_execz .LBB11_157
; %bb.169:                              ;   in Loop: Header=BB11_158 Depth=3
	v_mov_b32_e32 v17, s46
	ds_read_b64 v[17:18], v17 offset:8
	s_waitcnt lgkmcnt(0)
	v_add_f64 v[5:6], v[5:6], v[17:18]
	s_branch .LBB11_157
.LBB11_170:                             ;   in Loop: Header=BB11_141 Depth=1
	s_or_b64 exec, exec, s[14:15]
.LBB11_171:                             ;   in Loop: Header=BB11_141 Depth=1
	s_and_saveexec_b64 s[14:15], s[0:1]
	s_cbranch_execz .LBB11_140
; %bb.172:                              ;   in Loop: Header=BB11_141 Depth=1
	v_mad_u64_u32 v[4:5], s[0:1], s6, v11, 0
	v_mov_b32_e32 v2, v5
	v_mad_u64_u32 v[5:6], s[0:1], s7, v11, v[2:3]
	ds_read_b64 v[6:7], v9
	v_mov_b32_e32 v2, s33
	v_lshlrev_b64 v[4:5], 3, v[4:5]
	v_add_co_u32_e32 v4, vcc, s8, v4
	v_addc_co_u32_e32 v5, vcc, v2, v5, vcc
	s_waitcnt lgkmcnt(0)
	flat_store_dwordx2 v[4:5], v[6:7]
	s_branch .LBB11_140
.LBB11_173:
	s_endpgm
	.section	.rodata,"a",@progbits
	.p2align	6, 0x0
	.amdhsa_kernel _ZL19rocblas_tbsv_kernelILb0ELi512EPKPKdPKPdEv18rocblas_operation_bbiiT1_lllT2_lll
		.amdhsa_group_segment_fixed_size 16384
		.amdhsa_private_segment_fixed_size 0
		.amdhsa_kernarg_size 80
		.amdhsa_user_sgpr_count 6
		.amdhsa_user_sgpr_private_segment_buffer 1
		.amdhsa_user_sgpr_dispatch_ptr 0
		.amdhsa_user_sgpr_queue_ptr 0
		.amdhsa_user_sgpr_kernarg_segment_ptr 1
		.amdhsa_user_sgpr_dispatch_id 0
		.amdhsa_user_sgpr_flat_scratch_init 0
		.amdhsa_user_sgpr_private_segment_size 0
		.amdhsa_uses_dynamic_stack 0
		.amdhsa_system_sgpr_private_segment_wavefront_offset 0
		.amdhsa_system_sgpr_workgroup_id_x 1
		.amdhsa_system_sgpr_workgroup_id_y 0
		.amdhsa_system_sgpr_workgroup_id_z 0
		.amdhsa_system_sgpr_workgroup_info 0
		.amdhsa_system_vgpr_workitem_id 0
		.amdhsa_next_free_vgpr 29
		.amdhsa_next_free_sgpr 68
		.amdhsa_reserve_vcc 1
		.amdhsa_reserve_flat_scratch 0
		.amdhsa_float_round_mode_32 0
		.amdhsa_float_round_mode_16_64 0
		.amdhsa_float_denorm_mode_32 3
		.amdhsa_float_denorm_mode_16_64 3
		.amdhsa_dx10_clamp 1
		.amdhsa_ieee_mode 1
		.amdhsa_fp16_overflow 0
		.amdhsa_exception_fp_ieee_invalid_op 0
		.amdhsa_exception_fp_denorm_src 0
		.amdhsa_exception_fp_ieee_div_zero 0
		.amdhsa_exception_fp_ieee_overflow 0
		.amdhsa_exception_fp_ieee_underflow 0
		.amdhsa_exception_fp_ieee_inexact 0
		.amdhsa_exception_int_div_zero 0
	.end_amdhsa_kernel
	.section	.text._ZL19rocblas_tbsv_kernelILb0ELi512EPKPKdPKPdEv18rocblas_operation_bbiiT1_lllT2_lll,"axG",@progbits,_ZL19rocblas_tbsv_kernelILb0ELi512EPKPKdPKPdEv18rocblas_operation_bbiiT1_lllT2_lll,comdat
.Lfunc_end11:
	.size	_ZL19rocblas_tbsv_kernelILb0ELi512EPKPKdPKPdEv18rocblas_operation_bbiiT1_lllT2_lll, .Lfunc_end11-_ZL19rocblas_tbsv_kernelILb0ELi512EPKPKdPKPdEv18rocblas_operation_bbiiT1_lllT2_lll
                                        ; -- End function
	.set _ZL19rocblas_tbsv_kernelILb0ELi512EPKPKdPKPdEv18rocblas_operation_bbiiT1_lllT2_lll.num_vgpr, 26
	.set _ZL19rocblas_tbsv_kernelILb0ELi512EPKPKdPKPdEv18rocblas_operation_bbiiT1_lllT2_lll.num_agpr, 0
	.set _ZL19rocblas_tbsv_kernelILb0ELi512EPKPKdPKPdEv18rocblas_operation_bbiiT1_lllT2_lll.numbered_sgpr, 68
	.set _ZL19rocblas_tbsv_kernelILb0ELi512EPKPKdPKPdEv18rocblas_operation_bbiiT1_lllT2_lll.num_named_barrier, 0
	.set _ZL19rocblas_tbsv_kernelILb0ELi512EPKPKdPKPdEv18rocblas_operation_bbiiT1_lllT2_lll.private_seg_size, 0
	.set _ZL19rocblas_tbsv_kernelILb0ELi512EPKPKdPKPdEv18rocblas_operation_bbiiT1_lllT2_lll.uses_vcc, 1
	.set _ZL19rocblas_tbsv_kernelILb0ELi512EPKPKdPKPdEv18rocblas_operation_bbiiT1_lllT2_lll.uses_flat_scratch, 0
	.set _ZL19rocblas_tbsv_kernelILb0ELi512EPKPKdPKPdEv18rocblas_operation_bbiiT1_lllT2_lll.has_dyn_sized_stack, 0
	.set _ZL19rocblas_tbsv_kernelILb0ELi512EPKPKdPKPdEv18rocblas_operation_bbiiT1_lllT2_lll.has_recursion, 0
	.set _ZL19rocblas_tbsv_kernelILb0ELi512EPKPKdPKPdEv18rocblas_operation_bbiiT1_lllT2_lll.has_indirect_call, 0
	.section	.AMDGPU.csdata,"",@progbits
; Kernel info:
; codeLenInByte = 6032
; TotalNumSgprs: 72
; NumVgprs: 26
; ScratchSize: 0
; MemoryBound: 0
; FloatMode: 240
; IeeeMode: 1
; LDSByteSize: 16384 bytes/workgroup (compile time only)
; SGPRBlocks: 8
; VGPRBlocks: 7
; NumSGPRsForWavesPerEU: 72
; NumVGPRsForWavesPerEU: 29
; Occupancy: 8
; WaveLimiterHint : 1
; COMPUTE_PGM_RSRC2:SCRATCH_EN: 0
; COMPUTE_PGM_RSRC2:USER_SGPR: 6
; COMPUTE_PGM_RSRC2:TRAP_HANDLER: 0
; COMPUTE_PGM_RSRC2:TGID_X_EN: 1
; COMPUTE_PGM_RSRC2:TGID_Y_EN: 0
; COMPUTE_PGM_RSRC2:TGID_Z_EN: 0
; COMPUTE_PGM_RSRC2:TIDIG_COMP_CNT: 0
	.section	.text._ZL19rocblas_tbsv_kernelILb1ELi512EPKPK19rocblas_complex_numIfEPKPS1_Ev18rocblas_operation_bbiiT1_lllT2_lll,"axG",@progbits,_ZL19rocblas_tbsv_kernelILb1ELi512EPKPK19rocblas_complex_numIfEPKPS1_Ev18rocblas_operation_bbiiT1_lllT2_lll,comdat
	.globl	_ZL19rocblas_tbsv_kernelILb1ELi512EPKPK19rocblas_complex_numIfEPKPS1_Ev18rocblas_operation_bbiiT1_lllT2_lll ; -- Begin function _ZL19rocblas_tbsv_kernelILb1ELi512EPKPK19rocblas_complex_numIfEPKPS1_Ev18rocblas_operation_bbiiT1_lllT2_lll
	.p2align	8
	.type	_ZL19rocblas_tbsv_kernelILb1ELi512EPKPK19rocblas_complex_numIfEPKPS1_Ev18rocblas_operation_bbiiT1_lllT2_lll,@function
_ZL19rocblas_tbsv_kernelILb1ELi512EPKPK19rocblas_complex_numIfEPKPS1_Ev18rocblas_operation_bbiiT1_lllT2_lll: ; @_ZL19rocblas_tbsv_kernelILb1ELi512EPKPK19rocblas_complex_numIfEPKPS1_Ev18rocblas_operation_bbiiT1_lllT2_lll
; %bb.0:
	s_load_dwordx2 s[26:27], s[4:5], 0x0
	s_load_dwordx4 s[8:11], s[4:5], 0x4
	s_load_dwordx4 s[12:15], s[4:5], 0x10
	s_load_dwordx2 s[16:17], s[4:5], 0x20
	s_mov_b32 s7, 0
	s_waitcnt lgkmcnt(0)
	s_bitcmp1_b32 s27, 0
	s_cselect_b64 s[0:1], -1, 0
	s_xor_b64 s[24:25], s[0:1], -1
	s_bitcmp1_b32 s8, 8
	s_cselect_b64 s[18:19], -1, 0
	s_lshl_b64 s[22:23], s[6:7], 3
	s_add_u32 s20, s12, s22
	s_addc_u32 s21, s13, s23
	s_load_dwordx2 s[12:13], s[20:21], 0x0
	s_load_dwordx4 s[0:3], s[4:5], 0x30
	s_load_dwordx2 s[6:7], s[4:5], 0x40
	s_lshl_b64 s[20:21], s[14:15], 3
	s_waitcnt lgkmcnt(0)
	s_add_u32 s4, s12, s20
	s_addc_u32 s5, s13, s21
	s_add_u32 s0, s0, s22
	s_addc_u32 s1, s1, s23
	s_load_dwordx2 s[0:1], s[0:1], 0x0
	s_lshl_b64 s[2:3], s[2:3], 3
	s_waitcnt lgkmcnt(0)
	s_add_u32 s8, s0, s2
	s_addc_u32 s33, s1, s3
	s_cmp_gt_i32 s9, 0
	s_cselect_b64 s[22:23], -1, 0
	s_cmpk_lg_i32 s26, 0x6f
	s_mov_b64 s[0:1], -1
	s_cbranch_scc0 .LBB12_107
; %bb.1:
	s_and_b64 vcc, exec, s[24:25]
	s_cbranch_vccz .LBB12_54
; %bb.2:
	s_andn2_b64 vcc, exec, s[22:23]
	s_cbranch_vccnz .LBB12_53
; %bb.3:
	s_ashr_i32 s1, s9, 31
	s_mov_b32 s0, s9
	s_add_i32 s38, s9, 0xfffffe00
	s_add_i32 s11, s9, -1
	s_lshl_b64 s[0:1], s[0:1], 3
	s_add_u32 s0, s20, s0
	s_addc_u32 s1, s21, s1
	s_add_u32 s0, s12, s0
	v_mov_b32_e32 v1, 0x3000
	s_addc_u32 s1, s13, s1
	v_lshl_or_b32 v9, v0, 3, v1
	s_add_u32 s26, s0, 0xfffff000
	v_add_u32_e32 v1, s9, v0
	v_sub_u32_e32 v10, 0, v0
	s_addc_u32 s27, s1, -1
	v_add_u32_e32 v11, 0xfffffc00, v1
	s_lshl_b64 s[28:29], s[16:17], 3
	v_mov_b32_e32 v12, s5
	s_xor_b64 s[30:31], s[18:19], -1
	v_mov_b32_e32 v2, 0
	s_mov_b32 s44, s9
	s_branch .LBB12_5
.LBB12_4:                               ;   in Loop: Header=BB12_5 Depth=1
	s_or_b64 exec, exec, s[34:35]
	s_addk_i32 s11, 0xfe00
	s_addk_i32 s44, 0xfe00
	s_add_u32 s26, s26, 0xfffff000
	s_addc_u32 s27, s27, -1
	v_add_u32_e32 v11, 0xfffffe00, v11
	s_andn2_b64 vcc, exec, s[2:3]
	s_mov_b32 s38, s45
	s_waitcnt vmcnt(0) lgkmcnt(0)
	s_barrier
	s_cbranch_vccz .LBB12_53
.LBB12_5:                               ; =>This Loop Header: Depth=1
                                        ;     Child Loop BB12_10 Depth 2
                                        ;     Child Loop BB12_23 Depth 2
                                        ;       Child Loop BB12_26 Depth 3
	v_add_u32_e32 v13, s38, v0
	v_cmp_gt_i32_e32 vcc, 0, v13
	v_cmp_lt_i32_e64 s[0:1], -1, v13
	s_and_saveexec_b64 s[34:35], s[0:1]
	s_cbranch_execz .LBB12_7
; %bb.6:                                ;   in Loop: Header=BB12_5 Depth=1
	v_mad_u64_u32 v[3:4], s[2:3], s6, v13, 0
	v_mov_b32_e32 v1, v4
	v_mad_u64_u32 v[4:5], s[2:3], s7, v13, v[1:2]
	v_mov_b32_e32 v1, s33
	v_lshlrev_b64 v[3:4], 3, v[3:4]
	v_add_co_u32_e64 v3, s[2:3], s8, v3
	v_addc_co_u32_e64 v4, s[2:3], v1, v4, s[2:3]
	flat_load_dwordx2 v[3:4], v[3:4]
	s_waitcnt vmcnt(0) lgkmcnt(0)
	ds_write_b64 v9, v[3:4]
.LBB12_7:                               ;   in Loop: Header=BB12_5 Depth=1
	s_or_b64 exec, exec, s[34:35]
	v_ashrrev_i32_e32 v1, 31, v13
	v_mul_lo_u32 v5, s17, v13
	v_mul_lo_u32 v1, s16, v1
	v_mad_u64_u32 v[3:4], s[2:3], s16, v13, 0
	v_add_u32_e32 v14, s10, v13
	s_movk_i32 s39, 0x1ff
	v_add3_u32 v4, v4, v1, v5
	v_lshlrev_b64 v[3:4], 3, v[3:4]
	s_movk_i32 s40, 0x3ff8
	v_add_co_u32_e64 v15, s[2:3], s4, v3
	v_addc_co_u32_e64 v16, s[2:3], v12, v4, s[2:3]
	s_xor_b64 s[34:35], vcc, -1
	s_waitcnt lgkmcnt(0)
	s_barrier
	s_branch .LBB12_10
.LBB12_8:                               ;   in Loop: Header=BB12_10 Depth=2
	s_or_b64 exec, exec, s[2:3]
	s_add_i32 s39, s39, -1
	s_add_i32 s40, s40, -8
	s_cmp_eq_u32 s39, -1
	s_cselect_b64 s[2:3], -1, 0
.LBB12_9:                               ;   in Loop: Header=BB12_10 Depth=2
	s_and_b64 vcc, exec, s[2:3]
	s_cbranch_vccnz .LBB12_19
.LBB12_10:                              ;   Parent Loop BB12_5 Depth=1
                                        ; =>  This Inner Loop Header: Depth=2
	s_add_i32 s41, s11, s39
	s_addk_i32 s41, 0xfe01
	s_cmp_lt_i32 s41, 0
	s_mov_b64 s[2:3], -1
	s_cbranch_scc1 .LBB12_9
; %bb.11:                               ;   in Loop: Header=BB12_10 Depth=2
	v_add_u32_e32 v1, s39, v10
	v_cmp_eq_u32_e32 vcc, 0, v1
	s_and_b64 s[36:37], s[30:31], vcc
	s_and_saveexec_b64 s[2:3], s[36:37]
	s_cbranch_execz .LBB12_17
; %bb.12:                               ;   in Loop: Header=BB12_10 Depth=2
	s_mul_i32 s36, s17, s41
	s_mul_hi_u32 s37, s16, s41
	s_add_i32 s37, s37, s36
	s_mul_i32 s36, s16, s41
	s_lshl_b64 s[36:37], s[36:37], 3
	s_add_u32 s36, s4, s36
	s_addc_u32 s37, s5, s37
	v_mov_b32_e32 v3, s36
	v_mov_b32_e32 v4, s37
	flat_load_dwordx2 v[5:6], v[3:4]
	ds_read_b64 v[3:4], v9
                                        ; implicit-def: $vgpr7
	s_waitcnt vmcnt(0) lgkmcnt(0)
	v_cmp_ngt_f32_e64 s[36:37], |v5|, |v6|
	s_and_saveexec_b64 s[42:43], s[36:37]
	s_xor_b64 s[36:37], exec, s[42:43]
	s_cbranch_execz .LBB12_14
; %bb.13:                               ;   in Loop: Header=BB12_10 Depth=2
	v_div_scale_f32 v7, s[42:43], -v6, -v6, v5
	v_div_scale_f32 v8, vcc, v5, -v6, v5
	v_rcp_f32_e32 v17, v7
	v_fma_f32 v18, -v7, v17, 1.0
	v_fmac_f32_e32 v17, v18, v17
	v_mul_f32_e32 v18, v8, v17
	v_fma_f32 v19, -v7, v18, v8
	v_fmac_f32_e32 v18, v19, v17
	v_fma_f32 v7, -v7, v18, v8
	v_div_fmas_f32 v7, v7, v17, v18
	v_div_fixup_f32 v7, v7, -v6, v5
	v_fma_f32 v5, v5, v7, -v6
	v_div_scale_f32 v6, s[42:43], v5, v5, 1.0
	v_div_scale_f32 v8, vcc, 1.0, v5, 1.0
	v_rcp_f32_e32 v17, v6
	v_fma_f32 v18, -v6, v17, 1.0
	v_fmac_f32_e32 v17, v18, v17
	v_mul_f32_e32 v18, v8, v17
	v_fma_f32 v19, -v6, v18, v8
	v_fmac_f32_e32 v18, v19, v17
	v_fma_f32 v6, -v6, v18, v8
	v_div_fmas_f32 v6, v6, v17, v18
	v_fma_f32 v8, v7, v3, v4
	v_fma_f32 v3, v7, v4, -v3
	v_div_fixup_f32 v4, v6, v5, 1.0
	v_mul_f32_e32 v7, v4, v8
	v_mul_f32_e32 v8, v4, v3
                                        ; implicit-def: $vgpr5_vgpr6
                                        ; implicit-def: $vgpr3_vgpr4
.LBB12_14:                              ;   in Loop: Header=BB12_10 Depth=2
	s_andn2_saveexec_b64 s[36:37], s[36:37]
	s_cbranch_execz .LBB12_16
; %bb.15:                               ;   in Loop: Header=BB12_10 Depth=2
	v_div_scale_f32 v7, s[42:43], v5, v5, -v6
	v_div_scale_f32 v8, vcc, -v6, v5, -v6
	v_rcp_f32_e32 v17, v7
	v_fma_f32 v18, -v7, v17, 1.0
	v_fmac_f32_e32 v17, v18, v17
	v_mul_f32_e32 v18, v8, v17
	v_fma_f32 v19, -v7, v18, v8
	v_fmac_f32_e32 v18, v19, v17
	v_fma_f32 v7, -v7, v18, v8
	v_div_fmas_f32 v7, v7, v17, v18
	v_div_fixup_f32 v7, v7, v5, -v6
	v_fma_f32 v5, -v6, v7, v5
	v_div_scale_f32 v6, s[42:43], v5, v5, 1.0
	v_div_scale_f32 v8, vcc, 1.0, v5, 1.0
	v_rcp_f32_e32 v17, v6
	v_fma_f32 v18, -v6, v17, 1.0
	v_fmac_f32_e32 v17, v18, v17
	v_mul_f32_e32 v18, v8, v17
	v_fma_f32 v19, -v6, v18, v8
	v_fmac_f32_e32 v18, v19, v17
	v_fma_f32 v6, -v6, v18, v8
	v_div_fmas_f32 v6, v6, v17, v18
	v_fma_f32 v8, v7, v4, v3
	v_fma_f32 v3, -v7, v3, v4
	v_div_fixup_f32 v4, v6, v5, 1.0
	v_mul_f32_e32 v7, v4, v8
	v_mul_f32_e32 v8, v4, v3
.LBB12_16:                              ;   in Loop: Header=BB12_10 Depth=2
	s_or_b64 exec, exec, s[36:37]
	ds_write_b64 v9, v[7:8]
.LBB12_17:                              ;   in Loop: Header=BB12_10 Depth=2
	s_or_b64 exec, exec, s[2:3]
	v_cmp_gt_u32_e32 vcc, s39, v0
	v_cmp_le_i32_e64 s[2:3], s41, v14
	s_and_b64 s[36:37], s[34:35], vcc
	s_and_b64 s[36:37], s[36:37], s[2:3]
	s_waitcnt lgkmcnt(0)
	s_barrier
	s_and_saveexec_b64 s[2:3], s[36:37]
	s_cbranch_execz .LBB12_8
; %bb.18:                               ;   in Loop: Header=BB12_10 Depth=2
	v_lshlrev_b64 v[3:4], 3, v[1:2]
	v_mov_b32_e32 v1, s40
	v_add_co_u32_e32 v3, vcc, v15, v3
	v_addc_co_u32_e32 v4, vcc, v16, v4, vcc
	flat_load_dwordx2 v[3:4], v[3:4]
	ds_read_b64 v[5:6], v1
	ds_read_b64 v[7:8], v9
	s_waitcnt vmcnt(0) lgkmcnt(0)
	v_mul_f32_e32 v1, v4, v6
	v_mul_f32_e32 v4, v4, v5
	v_fmac_f32_e32 v1, v3, v5
	v_fma_f32 v4, v3, v6, -v4
	v_sub_f32_e32 v3, v7, v1
	v_sub_f32_e32 v4, v8, v4
	ds_write_b64 v9, v[3:4]
	s_branch .LBB12_8
.LBB12_19:                              ;   in Loop: Header=BB12_5 Depth=1
	s_add_i32 s45, s38, 0xfffffe00
	s_cmp_lt_i32 s38, 1
	s_cselect_b64 s[2:3], -1, 0
	s_and_b64 vcc, exec, s[2:3]
	s_waitcnt lgkmcnt(0)
	s_barrier
	s_cbranch_vccnz .LBB12_51
; %bb.20:                               ;   in Loop: Header=BB12_5 Depth=1
	v_mad_i64_i32 v[3:4], s[34:35], v11, -8, s[26:27]
	s_mov_b64 s[34:35], 0
	v_mov_b32_e32 v1, v11
	v_mov_b32_e32 v7, v0
	s_mov_b32 s46, s45
                                        ; implicit-def: $sgpr36_sgpr37
	s_branch .LBB12_23
.LBB12_21:                              ;   in Loop: Header=BB12_23 Depth=2
	v_mad_u64_u32 v[5:6], s[40:41], s6, v14, 0
	s_add_i32 s42, s46, 0xfffffe00
	s_cmp_lt_i32 s46, 1
	v_mad_u64_u32 v[16:17], s[40:41], s7, v14, v[6:7]
	v_mov_b32_e32 v14, s33
	s_cselect_b64 s[40:41], -1, 0
	v_mov_b32_e32 v6, v16
	v_lshlrev_b64 v[5:6], 3, v[5:6]
	s_andn2_b64 s[36:37], s[36:37], exec
	v_add_co_u32_e32 v5, vcc, s8, v5
	v_addc_co_u32_e32 v6, vcc, v14, v6, vcc
	flat_load_dwordx2 v[16:17], v[5:6]
	v_add_co_u32_e32 v3, vcc, 0x1000, v3
	s_and_b64 s[40:41], s[40:41], exec
	v_add_u32_e32 v1, 0xfffffe00, v1
	v_addc_co_u32_e32 v4, vcc, 0, v4, vcc
	s_or_b64 s[36:37], s[36:37], s[40:41]
	s_mov_b32 s46, s42
	s_waitcnt vmcnt(0) lgkmcnt(0)
	v_sub_f32_e32 v14, v16, v15
	v_sub_f32_e32 v15, v17, v8
	flat_store_dwordx2 v[5:6], v[14:15]
.LBB12_22:                              ;   in Loop: Header=BB12_23 Depth=2
	s_or_b64 exec, exec, s[38:39]
	s_and_b64 s[38:39], exec, s[36:37]
	s_or_b64 s[34:35], s[38:39], s[34:35]
	s_andn2_b64 exec, exec, s[34:35]
	s_cbranch_execz .LBB12_50
.LBB12_23:                              ;   Parent Loop BB12_5 Depth=1
                                        ; =>  This Loop Header: Depth=2
                                        ;       Child Loop BB12_26 Depth 3
	v_add_u32_e32 v14, s46, v0
	v_cmp_lt_i32_e32 vcc, -1, v14
	s_or_b64 s[36:37], s[36:37], exec
	s_and_saveexec_b64 s[38:39], vcc
	s_cbranch_execz .LBB12_22
; %bb.24:                               ;   in Loop: Header=BB12_23 Depth=2
	v_mad_u64_u32 v[5:6], s[40:41], s28, v1, v[3:4]
	v_add_u32_e32 v16, s10, v14
	v_add_u32_e32 v17, 0xfffffdfd, v7
	v_mad_u64_u32 v[20:21], s[40:41], s29, v1, v[6:7]
	v_add_u32_e32 v18, 0xfffffdfe, v7
	v_add_u32_e32 v19, 0xfffffdff, v7
	v_mov_b32_e32 v6, v20
	v_add_u32_e32 v7, 0xfffffe00, v7
	v_mov_b32_e32 v8, 0
	s_mov_b32 s47, 0
	s_movk_i32 s48, 0x3000
	v_mov_b32_e32 v15, 0
	s_branch .LBB12_26
.LBB12_25:                              ;   in Loop: Header=BB12_26 Depth=3
	s_or_b64 exec, exec, s[40:41]
	s_add_i32 s47, s47, 4
	s_add_i32 s48, s48, 32
	v_add_co_u32_e32 v5, vcc, 32, v5
	s_cmpk_eq_i32 s47, 0x200
	v_addc_co_u32_e32 v6, vcc, 0, v6, vcc
	s_cbranch_scc1 .LBB12_21
.LBB12_26:                              ;   Parent Loop BB12_5 Depth=1
                                        ;     Parent Loop BB12_23 Depth=2
                                        ; =>    This Inner Loop Header: Depth=3
	v_cmp_ne_u32_e32 vcc, s47, v7
	s_add_i32 s49, s44, s47
	s_or_b64 s[40:41], s[30:31], vcc
	s_and_saveexec_b64 s[42:43], s[40:41]
	s_xor_b64 s[40:41], exec, s[42:43]
	s_cbranch_execz .LBB12_30
; %bb.27:                               ;   in Loop: Header=BB12_26 Depth=3
	s_add_i32 s42, s49, 0xfffffe00
	v_cmp_le_i32_e32 vcc, s42, v16
	s_and_saveexec_b64 s[42:43], vcc
	s_cbranch_execz .LBB12_29
; %bb.28:                               ;   in Loop: Header=BB12_26 Depth=3
	flat_load_dwordx2 v[20:21], v[5:6]
	v_mov_b32_e32 v22, s48
	ds_read_b64 v[22:23], v22
	s_waitcnt vmcnt(0) lgkmcnt(0)
	v_mul_f32_e32 v24, v21, v23
	v_mul_f32_e32 v21, v21, v22
	v_fmac_f32_e32 v24, v20, v22
	v_fma_f32 v20, v20, v23, -v21
	v_add_f32_e32 v15, v15, v24
	v_add_f32_e32 v8, v8, v20
.LBB12_29:                              ;   in Loop: Header=BB12_26 Depth=3
	s_or_b64 exec, exec, s[42:43]
.LBB12_30:                              ;   in Loop: Header=BB12_26 Depth=3
	s_andn2_saveexec_b64 s[40:41], s[40:41]
	s_cbranch_execz .LBB12_32
; %bb.31:                               ;   in Loop: Header=BB12_26 Depth=3
	v_mov_b32_e32 v20, s48
	ds_read_b64 v[20:21], v20
	s_waitcnt lgkmcnt(0)
	v_add_f32_e32 v15, v15, v20
	v_add_f32_e32 v8, v8, v21
.LBB12_32:                              ;   in Loop: Header=BB12_26 Depth=3
	s_or_b64 exec, exec, s[40:41]
	v_cmp_ne_u32_e32 vcc, s47, v19
	s_or_b64 s[40:41], s[30:31], vcc
	s_and_saveexec_b64 s[42:43], s[40:41]
	s_xor_b64 s[40:41], exec, s[42:43]
	s_cbranch_execz .LBB12_36
; %bb.33:                               ;   in Loop: Header=BB12_26 Depth=3
	s_add_i32 s42, s49, 0xfffffe01
	v_cmp_le_i32_e32 vcc, s42, v16
	s_and_saveexec_b64 s[42:43], vcc
	s_cbranch_execz .LBB12_35
; %bb.34:                               ;   in Loop: Header=BB12_26 Depth=3
	flat_load_dwordx2 v[20:21], v[5:6] offset:8
	v_mov_b32_e32 v22, s48
	ds_read_b64 v[22:23], v22 offset:8
	s_waitcnt vmcnt(0) lgkmcnt(0)
	v_mul_f32_e32 v24, v21, v23
	v_mul_f32_e32 v21, v21, v22
	v_fmac_f32_e32 v24, v20, v22
	v_fma_f32 v20, v20, v23, -v21
	v_add_f32_e32 v15, v15, v24
	v_add_f32_e32 v8, v8, v20
.LBB12_35:                              ;   in Loop: Header=BB12_26 Depth=3
	s_or_b64 exec, exec, s[42:43]
.LBB12_36:                              ;   in Loop: Header=BB12_26 Depth=3
	s_andn2_saveexec_b64 s[40:41], s[40:41]
	s_cbranch_execz .LBB12_38
; %bb.37:                               ;   in Loop: Header=BB12_26 Depth=3
	v_mov_b32_e32 v20, s48
	ds_read_b64 v[20:21], v20 offset:8
	s_waitcnt lgkmcnt(0)
	v_add_f32_e32 v15, v15, v20
	v_add_f32_e32 v8, v8, v21
.LBB12_38:                              ;   in Loop: Header=BB12_26 Depth=3
	s_or_b64 exec, exec, s[40:41]
	v_cmp_ne_u32_e32 vcc, s47, v18
	s_or_b64 s[40:41], s[30:31], vcc
	s_and_saveexec_b64 s[42:43], s[40:41]
	s_xor_b64 s[40:41], exec, s[42:43]
	s_cbranch_execz .LBB12_42
; %bb.39:                               ;   in Loop: Header=BB12_26 Depth=3
	s_add_i32 s42, s49, 0xfffffe02
	v_cmp_le_i32_e32 vcc, s42, v16
	s_and_saveexec_b64 s[42:43], vcc
	s_cbranch_execz .LBB12_41
; %bb.40:                               ;   in Loop: Header=BB12_26 Depth=3
	flat_load_dwordx2 v[20:21], v[5:6] offset:16
	v_mov_b32_e32 v22, s48
	ds_read_b64 v[22:23], v22 offset:16
	s_waitcnt vmcnt(0) lgkmcnt(0)
	v_mul_f32_e32 v24, v21, v23
	v_mul_f32_e32 v21, v21, v22
	v_fmac_f32_e32 v24, v20, v22
	v_fma_f32 v20, v20, v23, -v21
	v_add_f32_e32 v15, v15, v24
	v_add_f32_e32 v8, v8, v20
.LBB12_41:                              ;   in Loop: Header=BB12_26 Depth=3
	s_or_b64 exec, exec, s[42:43]
.LBB12_42:                              ;   in Loop: Header=BB12_26 Depth=3
	s_andn2_saveexec_b64 s[40:41], s[40:41]
	s_cbranch_execz .LBB12_44
; %bb.43:                               ;   in Loop: Header=BB12_26 Depth=3
	v_mov_b32_e32 v20, s48
	ds_read_b64 v[20:21], v20 offset:16
	s_waitcnt lgkmcnt(0)
	v_add_f32_e32 v15, v15, v20
	v_add_f32_e32 v8, v8, v21
.LBB12_44:                              ;   in Loop: Header=BB12_26 Depth=3
	s_or_b64 exec, exec, s[40:41]
	v_cmp_ne_u32_e32 vcc, s47, v17
	s_or_b64 s[40:41], s[30:31], vcc
	s_and_saveexec_b64 s[42:43], s[40:41]
	s_xor_b64 s[40:41], exec, s[42:43]
	s_cbranch_execz .LBB12_48
; %bb.45:                               ;   in Loop: Header=BB12_26 Depth=3
	s_addk_i32 s49, 0xfe03
	v_cmp_le_i32_e32 vcc, s49, v16
	s_and_saveexec_b64 s[42:43], vcc
	s_cbranch_execz .LBB12_47
; %bb.46:                               ;   in Loop: Header=BB12_26 Depth=3
	flat_load_dwordx2 v[20:21], v[5:6] offset:24
	v_mov_b32_e32 v22, s48
	ds_read_b64 v[22:23], v22 offset:24
	s_waitcnt vmcnt(0) lgkmcnt(0)
	v_mul_f32_e32 v24, v21, v23
	v_mul_f32_e32 v21, v21, v22
	v_fmac_f32_e32 v24, v20, v22
	v_fma_f32 v20, v20, v23, -v21
	v_add_f32_e32 v15, v15, v24
	v_add_f32_e32 v8, v8, v20
.LBB12_47:                              ;   in Loop: Header=BB12_26 Depth=3
	s_or_b64 exec, exec, s[42:43]
.LBB12_48:                              ;   in Loop: Header=BB12_26 Depth=3
	s_andn2_saveexec_b64 s[40:41], s[40:41]
	s_cbranch_execz .LBB12_25
; %bb.49:                               ;   in Loop: Header=BB12_26 Depth=3
	v_mov_b32_e32 v20, s48
	ds_read_b64 v[20:21], v20 offset:24
	s_waitcnt lgkmcnt(0)
	v_add_f32_e32 v15, v15, v20
	v_add_f32_e32 v8, v8, v21
	s_branch .LBB12_25
.LBB12_50:                              ;   in Loop: Header=BB12_5 Depth=1
	s_or_b64 exec, exec, s[34:35]
.LBB12_51:                              ;   in Loop: Header=BB12_5 Depth=1
	s_and_saveexec_b64 s[34:35], s[0:1]
	s_cbranch_execz .LBB12_4
; %bb.52:                               ;   in Loop: Header=BB12_5 Depth=1
	v_mad_u64_u32 v[3:4], s[0:1], s6, v13, 0
	v_mov_b32_e32 v1, v4
	v_mad_u64_u32 v[4:5], s[0:1], s7, v13, v[1:2]
	ds_read_b64 v[5:6], v9
	v_mov_b32_e32 v1, s33
	v_lshlrev_b64 v[3:4], 3, v[3:4]
	v_add_co_u32_e32 v3, vcc, s8, v3
	v_addc_co_u32_e32 v4, vcc, v1, v4, vcc
	s_waitcnt lgkmcnt(0)
	flat_store_dwordx2 v[3:4], v[5:6]
	s_branch .LBB12_4
.LBB12_53:
	s_mov_b64 s[0:1], 0
.LBB12_54:
	s_andn2_b64 vcc, exec, s[0:1]
	s_cbranch_vccnz .LBB12_106
; %bb.55:
	s_andn2_b64 vcc, exec, s[22:23]
	s_cbranch_vccnz .LBB12_106
; %bb.56:
	s_ashr_i32 s11, s10, 31
	s_lshl_b64 s[26:27], s[16:17], 3
	s_add_u32 s28, s26, -8
	s_addc_u32 s30, s27, -1
	s_lshl_b64 s[0:1], s[10:11], 3
	s_add_u32 s2, s12, s0
	s_addc_u32 s3, s13, s1
	s_add_u32 s2, s2, s20
	s_addc_u32 s3, s3, s21
	v_mov_b32_e32 v1, s2
	v_mov_b32_e32 v2, s3
	v_mad_u64_u32 v[1:2], s[28:29], s28, v0, v[1:2]
	v_mov_b32_e32 v3, 0x1000
	v_lshl_or_b32 v15, v0, 3, v3
	v_mad_u64_u32 v[2:3], s[28:29], s30, v0, v[2:3]
	v_or_b32_e32 v16, 0x200, v0
	v_mad_u64_u32 v[3:4], s[28:29], s16, v16, 0
	s_lshl_b64 s[28:29], s[16:17], 12
	s_add_u32 s0, s20, s0
	v_mad_u64_u32 v[4:5], s[30:31], s17, v16, v[4:5]
	s_addc_u32 s1, s21, s1
	s_add_u32 s30, s12, s0
	s_addc_u32 s31, s13, s1
	v_lshlrev_b64 v[3:4], 3, v[3:4]
	s_add_u32 s11, s28, 0x1000
	s_addc_u32 s46, s29, 0
	v_mov_b32_e32 v5, s3
	v_add_co_u32_e32 v3, vcc, s2, v3
	s_add_u32 s47, s28, 0xfffff000
	v_addc_co_u32_e32 v4, vcc, v5, v4, vcc
	s_addc_u32 s48, s29, -1
	s_mov_b32 s49, 0
	s_xor_b64 s[34:35], s[18:19], -1
	s_branch .LBB12_58
.LBB12_57:                              ;   in Loop: Header=BB12_58 Depth=1
	s_or_b64 exec, exec, s[36:37]
	v_mov_b32_e32 v5, s29
	v_add_co_u32_e32 v1, vcc, s28, v1
	v_addc_co_u32_e32 v2, vcc, v2, v5, vcc
	v_mov_b32_e32 v5, s46
	v_add_co_u32_e32 v3, vcc, s11, v3
	s_add_u32 s30, s30, s28
	v_addc_co_u32_e32 v4, vcc, v4, v5, vcc
	s_addc_u32 s31, s31, s29
	v_add_u32_e32 v16, 0x200, v16
	s_and_b64 vcc, exec, s[2:3]
	s_mov_b32 s49, s50
	s_waitcnt vmcnt(0) lgkmcnt(0)
	s_barrier
	s_cbranch_vccnz .LBB12_106
.LBB12_58:                              ; =>This Loop Header: Depth=1
                                        ;     Child Loop BB12_63 Depth 2
                                        ;     Child Loop BB12_76 Depth 2
                                        ;       Child Loop BB12_79 Depth 3
	v_add_u32_e32 v17, s49, v0
	v_cmp_le_i32_e32 vcc, s9, v17
	v_cmp_gt_i32_e64 s[0:1], s9, v17
	s_and_saveexec_b64 s[36:37], s[0:1]
	s_cbranch_execz .LBB12_60
; %bb.59:                               ;   in Loop: Header=BB12_58 Depth=1
	v_mad_u64_u32 v[5:6], s[2:3], s6, v17, 0
	v_mad_u64_u32 v[6:7], s[2:3], s7, v17, v[6:7]
	v_mov_b32_e32 v7, s33
	v_lshlrev_b64 v[5:6], 3, v[5:6]
	v_add_co_u32_e64 v5, s[2:3], s8, v5
	v_addc_co_u32_e64 v6, s[2:3], v7, v6, s[2:3]
	flat_load_dwordx2 v[5:6], v[5:6]
	s_waitcnt vmcnt(0) lgkmcnt(0)
	ds_write_b64 v15, v[5:6]
.LBB12_60:                              ;   in Loop: Header=BB12_58 Depth=1
	s_or_b64 exec, exec, s[36:37]
	v_mov_b32_e32 v5, s30
	v_mov_b32_e32 v8, v2
	v_subrev_u32_e32 v18, s10, v17
	s_mov_b32 s40, 0
	s_movk_i32 s41, 0x1000
	v_mov_b32_e32 v6, s31
	s_xor_b64 s[36:37], vcc, -1
	v_mov_b32_e32 v7, v1
	s_waitcnt lgkmcnt(0)
	s_barrier
	s_branch .LBB12_63
.LBB12_61:                              ;   in Loop: Header=BB12_63 Depth=2
	s_or_b64 exec, exec, s[2:3]
	v_add_co_u32_e32 v7, vcc, 8, v7
	s_add_i32 s40, s40, 1
	s_add_i32 s41, s41, 8
	v_addc_co_u32_e32 v8, vcc, 0, v8, vcc
	v_mov_b32_e32 v9, s27
	v_add_co_u32_e32 v5, vcc, s26, v5
	s_cmpk_eq_i32 s40, 0x200
	v_addc_co_u32_e32 v6, vcc, v6, v9, vcc
	s_cselect_b64 s[2:3], -1, 0
.LBB12_62:                              ;   in Loop: Header=BB12_63 Depth=2
	s_and_b64 vcc, exec, s[2:3]
	s_cbranch_vccnz .LBB12_72
.LBB12_63:                              ;   Parent Loop BB12_58 Depth=1
                                        ; =>  This Inner Loop Header: Depth=2
	s_add_i32 s42, s49, s40
	s_cmp_ge_i32 s42, s9
	s_mov_b64 s[2:3], -1
	s_cbranch_scc1 .LBB12_62
; %bb.64:                               ;   in Loop: Header=BB12_63 Depth=2
	v_cmp_eq_u32_e32 vcc, s40, v0
	s_and_b64 s[38:39], s[34:35], vcc
	s_and_saveexec_b64 s[2:3], s[38:39]
	s_cbranch_execz .LBB12_70
; %bb.65:                               ;   in Loop: Header=BB12_63 Depth=2
	flat_load_dwordx2 v[11:12], v[5:6]
	ds_read_b64 v[9:10], v15
                                        ; implicit-def: $vgpr13
	s_waitcnt vmcnt(0) lgkmcnt(0)
	v_cmp_ngt_f32_e64 s[38:39], |v11|, |v12|
	s_and_saveexec_b64 s[44:45], s[38:39]
	s_xor_b64 s[38:39], exec, s[44:45]
	s_cbranch_execz .LBB12_67
; %bb.66:                               ;   in Loop: Header=BB12_63 Depth=2
	v_div_scale_f32 v13, s[44:45], -v12, -v12, v11
	v_div_scale_f32 v14, vcc, v11, -v12, v11
	v_rcp_f32_e32 v19, v13
	v_fma_f32 v20, -v13, v19, 1.0
	v_fmac_f32_e32 v19, v20, v19
	v_mul_f32_e32 v20, v14, v19
	v_fma_f32 v21, -v13, v20, v14
	v_fmac_f32_e32 v20, v21, v19
	v_fma_f32 v13, -v13, v20, v14
	v_div_fmas_f32 v13, v13, v19, v20
	v_div_fixup_f32 v13, v13, -v12, v11
	v_fma_f32 v11, v11, v13, -v12
	v_div_scale_f32 v12, s[44:45], v11, v11, 1.0
	v_div_scale_f32 v14, vcc, 1.0, v11, 1.0
	v_rcp_f32_e32 v19, v12
	v_fma_f32 v20, -v12, v19, 1.0
	v_fmac_f32_e32 v19, v20, v19
	v_mul_f32_e32 v20, v14, v19
	v_fma_f32 v21, -v12, v20, v14
	v_fmac_f32_e32 v20, v21, v19
	v_fma_f32 v12, -v12, v20, v14
	v_div_fmas_f32 v12, v12, v19, v20
	v_fma_f32 v14, v13, v9, v10
	v_fma_f32 v9, v13, v10, -v9
	v_div_fixup_f32 v10, v12, v11, 1.0
	v_mul_f32_e32 v13, v10, v14
	v_mul_f32_e32 v14, v10, v9
                                        ; implicit-def: $vgpr11_vgpr12
                                        ; implicit-def: $vgpr9_vgpr10
.LBB12_67:                              ;   in Loop: Header=BB12_63 Depth=2
	s_andn2_saveexec_b64 s[38:39], s[38:39]
	s_cbranch_execz .LBB12_69
; %bb.68:                               ;   in Loop: Header=BB12_63 Depth=2
	v_div_scale_f32 v13, s[44:45], v11, v11, -v12
	v_div_scale_f32 v14, vcc, -v12, v11, -v12
	v_rcp_f32_e32 v19, v13
	v_fma_f32 v20, -v13, v19, 1.0
	v_fmac_f32_e32 v19, v20, v19
	v_mul_f32_e32 v20, v14, v19
	v_fma_f32 v21, -v13, v20, v14
	v_fmac_f32_e32 v20, v21, v19
	v_fma_f32 v13, -v13, v20, v14
	v_div_fmas_f32 v13, v13, v19, v20
	v_div_fixup_f32 v13, v13, v11, -v12
	v_fma_f32 v11, -v12, v13, v11
	v_div_scale_f32 v12, s[44:45], v11, v11, 1.0
	v_div_scale_f32 v14, vcc, 1.0, v11, 1.0
	v_rcp_f32_e32 v19, v12
	v_fma_f32 v20, -v12, v19, 1.0
	v_fmac_f32_e32 v19, v20, v19
	v_mul_f32_e32 v20, v14, v19
	v_fma_f32 v21, -v12, v20, v14
	v_fmac_f32_e32 v20, v21, v19
	v_fma_f32 v12, -v12, v20, v14
	v_div_fmas_f32 v12, v12, v19, v20
	v_fma_f32 v14, v13, v10, v9
	v_fma_f32 v9, -v13, v9, v10
	v_div_fixup_f32 v10, v12, v11, 1.0
	v_mul_f32_e32 v13, v10, v14
	v_mul_f32_e32 v14, v10, v9
.LBB12_69:                              ;   in Loop: Header=BB12_63 Depth=2
	s_or_b64 exec, exec, s[38:39]
	ds_write_b64 v15, v[13:14]
.LBB12_70:                              ;   in Loop: Header=BB12_63 Depth=2
	s_or_b64 exec, exec, s[2:3]
	v_cmp_lt_u32_e32 vcc, s40, v0
	v_cmp_ge_i32_e64 s[2:3], s42, v18
	s_and_b64 s[38:39], s[36:37], vcc
	s_and_b64 s[38:39], s[38:39], s[2:3]
	s_waitcnt lgkmcnt(0)
	s_barrier
	s_and_saveexec_b64 s[2:3], s[38:39]
	s_cbranch_execz .LBB12_61
; %bb.71:                               ;   in Loop: Header=BB12_63 Depth=2
	flat_load_dwordx2 v[9:10], v[7:8]
	v_mov_b32_e32 v11, s41
	ds_read_b64 v[11:12], v11
	ds_read_b64 v[13:14], v15
	s_waitcnt vmcnt(0) lgkmcnt(0)
	v_mul_f32_e32 v19, v10, v12
	v_mul_f32_e32 v10, v10, v11
	v_fmac_f32_e32 v19, v9, v11
	v_fma_f32 v10, v9, v12, -v10
	v_sub_f32_e32 v9, v13, v19
	v_sub_f32_e32 v10, v14, v10
	ds_write_b64 v15, v[9:10]
	s_branch .LBB12_61
.LBB12_72:                              ;   in Loop: Header=BB12_58 Depth=1
	s_add_i32 s50, s49, 0x200
	s_cmp_ge_i32 s50, s9
	s_cselect_b64 s[2:3], -1, 0
	s_and_b64 vcc, exec, s[2:3]
	s_waitcnt lgkmcnt(0)
	s_barrier
	s_cbranch_vccnz .LBB12_104
; %bb.73:                               ;   in Loop: Header=BB12_58 Depth=1
	v_mad_i64_i32 v[5:6], s[36:37], v16, -8, v[3:4]
	s_mov_b64 s[36:37], 0
	v_mov_b32_e32 v9, v0
	s_mov_b32 s51, s50
                                        ; implicit-def: $sgpr38_sgpr39
	s_branch .LBB12_76
.LBB12_74:                              ;   in Loop: Header=BB12_76 Depth=2
	v_mad_u64_u32 v[7:8], s[42:43], s6, v12, 0
	s_addk_i32 s51, 0x200
	s_cmp_ge_i32 s51, s9
	v_mad_u64_u32 v[12:13], s[42:43], s7, v12, v[8:9]
	v_mov_b32_e32 v13, s33
	s_cselect_b64 s[42:43], -1, 0
	v_mov_b32_e32 v8, v12
	v_lshlrev_b64 v[7:8], 3, v[7:8]
	v_mov_b32_e32 v14, s48
	v_add_co_u32_e32 v7, vcc, s8, v7
	v_addc_co_u32_e32 v8, vcc, v13, v8, vcc
	flat_load_dwordx2 v[12:13], v[7:8]
	v_add_co_u32_e32 v5, vcc, s47, v5
	s_andn2_b64 s[38:39], s[38:39], exec
	s_and_b64 s[42:43], s[42:43], exec
	v_addc_co_u32_e32 v6, vcc, v6, v14, vcc
	s_or_b64 s[38:39], s[38:39], s[42:43]
	s_waitcnt vmcnt(0) lgkmcnt(0)
	v_sub_f32_e32 v11, v12, v11
	v_sub_f32_e32 v12, v13, v10
	flat_store_dwordx2 v[7:8], v[11:12]
.LBB12_75:                              ;   in Loop: Header=BB12_76 Depth=2
	s_or_b64 exec, exec, s[40:41]
	s_and_b64 s[40:41], exec, s[38:39]
	s_or_b64 s[36:37], s[40:41], s[36:37]
	s_andn2_b64 exec, exec, s[36:37]
	s_cbranch_execz .LBB12_103
.LBB12_76:                              ;   Parent Loop BB12_58 Depth=1
                                        ; =>  This Loop Header: Depth=2
                                        ;       Child Loop BB12_79 Depth 3
	v_add_u32_e32 v12, s51, v0
	v_cmp_gt_i32_e32 vcc, s9, v12
	s_or_b64 s[38:39], s[38:39], exec
	s_and_saveexec_b64 s[40:41], vcc
	s_cbranch_execz .LBB12_75
; %bb.77:                               ;   in Loop: Header=BB12_76 Depth=2
	v_mov_b32_e32 v8, v6
	v_subrev_u32_e32 v13, s10, v12
	v_add_u32_e32 v14, 0x1fd, v9
	v_add_u32_e32 v18, 0x1fe, v9
	;; [unrolled: 1-line block ×4, first 2 shown]
	v_mov_b32_e32 v10, 0
	s_mov_b32 s52, 0
	s_movk_i32 s53, 0x1000
	v_mov_b32_e32 v7, v5
	v_mov_b32_e32 v11, 0
	s_branch .LBB12_79
.LBB12_78:                              ;   in Loop: Header=BB12_79 Depth=3
	s_or_b64 exec, exec, s[42:43]
	s_add_i32 s52, s52, 4
	s_add_i32 s53, s53, 32
	v_add_co_u32_e32 v7, vcc, 32, v7
	s_cmpk_eq_i32 s52, 0x200
	v_addc_co_u32_e32 v8, vcc, 0, v8, vcc
	s_cbranch_scc1 .LBB12_74
.LBB12_79:                              ;   Parent Loop BB12_58 Depth=1
                                        ;     Parent Loop BB12_76 Depth=2
                                        ; =>    This Inner Loop Header: Depth=3
	v_cmp_ne_u32_e32 vcc, s52, v9
	s_add_i32 s54, s49, s52
	s_or_b64 s[42:43], s[34:35], vcc
	s_and_saveexec_b64 s[44:45], s[42:43]
	s_xor_b64 s[42:43], exec, s[44:45]
	s_cbranch_execz .LBB12_83
; %bb.80:                               ;   in Loop: Header=BB12_79 Depth=3
	s_cmp_lt_i32 s54, s9
	s_cselect_b64 s[44:45], -1, 0
	v_cmp_ge_i32_e32 vcc, s54, v13
	s_and_b64 s[56:57], s[44:45], vcc
	s_and_saveexec_b64 s[44:45], s[56:57]
	s_cbranch_execz .LBB12_82
; %bb.81:                               ;   in Loop: Header=BB12_79 Depth=3
	flat_load_dwordx2 v[20:21], v[7:8]
	v_mov_b32_e32 v22, s53
	ds_read_b64 v[22:23], v22
	s_waitcnt vmcnt(0) lgkmcnt(0)
	v_mul_f32_e32 v24, v21, v23
	v_mul_f32_e32 v21, v21, v22
	v_fmac_f32_e32 v24, v20, v22
	v_fma_f32 v20, v20, v23, -v21
	v_add_f32_e32 v11, v11, v24
	v_add_f32_e32 v10, v10, v20
.LBB12_82:                              ;   in Loop: Header=BB12_79 Depth=3
	s_or_b64 exec, exec, s[44:45]
.LBB12_83:                              ;   in Loop: Header=BB12_79 Depth=3
	s_andn2_saveexec_b64 s[42:43], s[42:43]
	s_cbranch_execz .LBB12_85
; %bb.84:                               ;   in Loop: Header=BB12_79 Depth=3
	v_mov_b32_e32 v20, s53
	ds_read_b64 v[20:21], v20
	s_waitcnt lgkmcnt(0)
	v_add_f32_e32 v11, v11, v20
	v_add_f32_e32 v10, v10, v21
.LBB12_85:                              ;   in Loop: Header=BB12_79 Depth=3
	s_or_b64 exec, exec, s[42:43]
	v_cmp_ne_u32_e32 vcc, s52, v19
	s_or_b64 s[42:43], s[34:35], vcc
	s_and_saveexec_b64 s[44:45], s[42:43]
	s_xor_b64 s[42:43], exec, s[44:45]
	s_cbranch_execz .LBB12_89
; %bb.86:                               ;   in Loop: Header=BB12_79 Depth=3
	s_add_i32 s55, s54, 1
	s_cmp_lt_i32 s55, s9
	s_cselect_b64 s[44:45], -1, 0
	v_cmp_ge_i32_e32 vcc, s55, v13
	s_and_b64 s[56:57], s[44:45], vcc
	s_and_saveexec_b64 s[44:45], s[56:57]
	s_cbranch_execz .LBB12_88
; %bb.87:                               ;   in Loop: Header=BB12_79 Depth=3
	flat_load_dwordx2 v[20:21], v[7:8] offset:8
	v_mov_b32_e32 v22, s53
	ds_read_b64 v[22:23], v22 offset:8
	s_waitcnt vmcnt(0) lgkmcnt(0)
	v_mul_f32_e32 v24, v21, v23
	v_mul_f32_e32 v21, v21, v22
	v_fmac_f32_e32 v24, v20, v22
	v_fma_f32 v20, v20, v23, -v21
	v_add_f32_e32 v11, v11, v24
	v_add_f32_e32 v10, v10, v20
.LBB12_88:                              ;   in Loop: Header=BB12_79 Depth=3
	s_or_b64 exec, exec, s[44:45]
.LBB12_89:                              ;   in Loop: Header=BB12_79 Depth=3
	s_andn2_saveexec_b64 s[42:43], s[42:43]
	s_cbranch_execz .LBB12_91
; %bb.90:                               ;   in Loop: Header=BB12_79 Depth=3
	v_mov_b32_e32 v20, s53
	ds_read_b64 v[20:21], v20 offset:8
	s_waitcnt lgkmcnt(0)
	v_add_f32_e32 v11, v11, v20
	v_add_f32_e32 v10, v10, v21
.LBB12_91:                              ;   in Loop: Header=BB12_79 Depth=3
	s_or_b64 exec, exec, s[42:43]
	v_cmp_ne_u32_e32 vcc, s52, v18
	s_or_b64 s[42:43], s[34:35], vcc
	s_and_saveexec_b64 s[44:45], s[42:43]
	s_xor_b64 s[42:43], exec, s[44:45]
	s_cbranch_execz .LBB12_95
; %bb.92:                               ;   in Loop: Header=BB12_79 Depth=3
	s_add_i32 s55, s54, 2
	s_cmp_lt_i32 s55, s9
	s_cselect_b64 s[44:45], -1, 0
	v_cmp_ge_i32_e32 vcc, s55, v13
	s_and_b64 s[56:57], s[44:45], vcc
	s_and_saveexec_b64 s[44:45], s[56:57]
	s_cbranch_execz .LBB12_94
; %bb.93:                               ;   in Loop: Header=BB12_79 Depth=3
	flat_load_dwordx2 v[20:21], v[7:8] offset:16
	v_mov_b32_e32 v22, s53
	ds_read_b64 v[22:23], v22 offset:16
	s_waitcnt vmcnt(0) lgkmcnt(0)
	v_mul_f32_e32 v24, v21, v23
	v_mul_f32_e32 v21, v21, v22
	v_fmac_f32_e32 v24, v20, v22
	v_fma_f32 v20, v20, v23, -v21
	v_add_f32_e32 v11, v11, v24
	v_add_f32_e32 v10, v10, v20
.LBB12_94:                              ;   in Loop: Header=BB12_79 Depth=3
	s_or_b64 exec, exec, s[44:45]
.LBB12_95:                              ;   in Loop: Header=BB12_79 Depth=3
	s_andn2_saveexec_b64 s[42:43], s[42:43]
	s_cbranch_execz .LBB12_97
; %bb.96:                               ;   in Loop: Header=BB12_79 Depth=3
	v_mov_b32_e32 v20, s53
	ds_read_b64 v[20:21], v20 offset:16
	s_waitcnt lgkmcnt(0)
	v_add_f32_e32 v11, v11, v20
	v_add_f32_e32 v10, v10, v21
.LBB12_97:                              ;   in Loop: Header=BB12_79 Depth=3
	s_or_b64 exec, exec, s[42:43]
	v_cmp_ne_u32_e32 vcc, s52, v14
	s_or_b64 s[42:43], s[34:35], vcc
	s_and_saveexec_b64 s[44:45], s[42:43]
	s_xor_b64 s[42:43], exec, s[44:45]
	s_cbranch_execz .LBB12_101
; %bb.98:                               ;   in Loop: Header=BB12_79 Depth=3
	s_add_i32 s54, s54, 3
	s_cmp_lt_i32 s54, s9
	s_cselect_b64 s[44:45], -1, 0
	v_cmp_ge_i32_e32 vcc, s54, v13
	s_and_b64 s[54:55], s[44:45], vcc
	s_and_saveexec_b64 s[44:45], s[54:55]
	s_cbranch_execz .LBB12_100
; %bb.99:                               ;   in Loop: Header=BB12_79 Depth=3
	flat_load_dwordx2 v[20:21], v[7:8] offset:24
	v_mov_b32_e32 v22, s53
	ds_read_b64 v[22:23], v22 offset:24
	s_waitcnt vmcnt(0) lgkmcnt(0)
	v_mul_f32_e32 v24, v21, v23
	v_mul_f32_e32 v21, v21, v22
	v_fmac_f32_e32 v24, v20, v22
	v_fma_f32 v20, v20, v23, -v21
	v_add_f32_e32 v11, v11, v24
	v_add_f32_e32 v10, v10, v20
.LBB12_100:                             ;   in Loop: Header=BB12_79 Depth=3
	s_or_b64 exec, exec, s[44:45]
.LBB12_101:                             ;   in Loop: Header=BB12_79 Depth=3
	s_andn2_saveexec_b64 s[42:43], s[42:43]
	s_cbranch_execz .LBB12_78
; %bb.102:                              ;   in Loop: Header=BB12_79 Depth=3
	v_mov_b32_e32 v20, s53
	ds_read_b64 v[20:21], v20 offset:24
	s_waitcnt lgkmcnt(0)
	v_add_f32_e32 v11, v11, v20
	v_add_f32_e32 v10, v10, v21
	s_branch .LBB12_78
.LBB12_103:                             ;   in Loop: Header=BB12_58 Depth=1
	s_or_b64 exec, exec, s[36:37]
.LBB12_104:                             ;   in Loop: Header=BB12_58 Depth=1
	s_and_saveexec_b64 s[36:37], s[0:1]
	s_cbranch_execz .LBB12_57
; %bb.105:                              ;   in Loop: Header=BB12_58 Depth=1
	v_mad_u64_u32 v[5:6], s[0:1], s6, v17, 0
	v_mov_b32_e32 v9, s33
	v_mad_u64_u32 v[6:7], s[0:1], s7, v17, v[6:7]
	ds_read_b64 v[7:8], v15
	v_lshlrev_b64 v[5:6], 3, v[5:6]
	v_add_co_u32_e32 v5, vcc, s8, v5
	v_addc_co_u32_e32 v6, vcc, v9, v6, vcc
	s_waitcnt lgkmcnt(0)
	flat_store_dwordx2 v[5:6], v[7:8]
	s_branch .LBB12_57
.LBB12_106:
	s_mov_b64 s[0:1], 0
.LBB12_107:
	s_andn2_b64 vcc, exec, s[0:1]
	s_cbranch_vccnz .LBB12_189
; %bb.108:
	s_mov_b64 s[0:1], -1
	s_and_b64 vcc, exec, s[24:25]
	s_cbranch_vccz .LBB12_149
; %bb.109:
	s_andn2_b64 vcc, exec, s[22:23]
	s_cbranch_vccnz .LBB12_148
; %bb.110:
	s_lshl_b64 s[24:25], s[16:17], 12
	s_lshl_b64 s[26:27], s[16:17], 3
	s_add_u32 s28, s12, s26
	s_addc_u32 s29, s13, s27
	s_lshl_b64 s[0:1], s[16:17], 4
	s_add_u32 s11, s0, -16
	v_lshlrev_b32_e32 v9, 3, v0
	v_or_b32_e32 v10, 0x200, v0
	s_addc_u32 s58, s1, -1
	s_mov_b32 s59, 0
	s_mov_b64 s[30:31], -1
	s_mov_b64 s[34:35], 0
	s_xor_b64 s[36:37], s[18:19], -1
	v_mov_b32_e32 v2, 0
	s_mov_b64 s[38:39], 0
	s_mov_b64 s[40:41], s[4:5]
	s_branch .LBB12_112
.LBB12_111:                             ;   in Loop: Header=BB12_112 Depth=1
	s_or_b64 exec, exec, s[42:43]
	s_add_u32 s40, s40, s24
	s_addc_u32 s41, s41, s25
	s_add_u32 s30, s30, 0xfffffe00
	s_addc_u32 s31, s31, -1
	s_add_u32 s38, s38, s24
	s_addc_u32 s39, s39, s25
	s_add_u32 s34, s34, 0xfffffe00
	v_add_u32_e32 v10, 0x200, v10
	s_addc_u32 s35, s35, -1
	s_and_b64 vcc, exec, s[2:3]
	s_mov_b32 s59, s60
	s_waitcnt vmcnt(0) lgkmcnt(0)
	s_barrier
	s_cbranch_vccnz .LBB12_148
.LBB12_112:                             ; =>This Loop Header: Depth=1
                                        ;     Child Loop BB12_116 Depth 2
                                        ;     Child Loop BB12_130 Depth 2
                                        ;       Child Loop BB12_133 Depth 3
	v_add_u32_e32 v11, s59, v0
	v_cmp_le_i32_e32 vcc, s9, v11
	v_cmp_gt_i32_e64 s[0:1], s9, v11
	s_and_saveexec_b64 s[42:43], s[0:1]
	s_cbranch_execz .LBB12_114
; %bb.113:                              ;   in Loop: Header=BB12_112 Depth=1
	v_mad_u64_u32 v[3:4], s[2:3], s6, v11, 0
	v_mov_b32_e32 v1, v4
	v_mad_u64_u32 v[4:5], s[2:3], s7, v11, v[1:2]
	v_mov_b32_e32 v1, s33
	v_lshlrev_b64 v[3:4], 3, v[3:4]
	v_add_co_u32_e64 v3, s[2:3], s8, v3
	v_addc_co_u32_e64 v4, s[2:3], v1, v4, s[2:3]
	flat_load_dwordx2 v[3:4], v[3:4]
	s_waitcnt vmcnt(0) lgkmcnt(0)
	ds_write_b64 v9, v[3:4]
.LBB12_114:                             ;   in Loop: Header=BB12_112 Depth=1
	s_or_b64 exec, exec, s[42:43]
	v_subrev_u32_e32 v12, s10, v11
	s_mov_b32 s48, 0
	s_xor_b64 s[42:43], vcc, -1
	s_mov_b64 s[44:45], s[40:41]
	v_mov_b32_e32 v1, v0
	s_mov_b32 s49, 0
	s_waitcnt lgkmcnt(0)
	s_barrier
	s_branch .LBB12_116
.LBB12_115:                             ;   in Loop: Header=BB12_116 Depth=2
                                        ; implicit-def: $sgpr49
                                        ; implicit-def: $sgpr48
                                        ; implicit-def: $sgpr44_sgpr45
	s_cbranch_execnz .LBB12_126
.LBB12_116:                             ;   Parent Loop BB12_112 Depth=1
                                        ; =>  This Inner Loop Header: Depth=2
	s_add_i32 s50, s59, s49
	s_cmp_ge_i32 s50, s9
	s_cbranch_scc1 .LBB12_115
; %bb.117:                              ;   in Loop: Header=BB12_116 Depth=2
	v_cmp_eq_u32_e32 vcc, s49, v0
	s_and_b64 s[46:47], s[36:37], vcc
	s_and_saveexec_b64 s[2:3], s[46:47]
	s_cbranch_execz .LBB12_123
; %bb.118:                              ;   in Loop: Header=BB12_116 Depth=2
	v_mov_b32_e32 v3, s44
	v_mov_b32_e32 v4, s45
	flat_load_dwordx2 v[3:4], v[3:4]
	ds_read_b64 v[5:6], v9
                                        ; implicit-def: $vgpr7
	s_waitcnt vmcnt(0) lgkmcnt(0)
	v_cmp_ngt_f32_e64 s[46:47], |v3|, |v4|
	s_and_saveexec_b64 s[52:53], s[46:47]
	s_xor_b64 s[46:47], exec, s[52:53]
	s_cbranch_execz .LBB12_120
; %bb.119:                              ;   in Loop: Header=BB12_116 Depth=2
	v_div_scale_f32 v7, s[52:53], v4, v4, v3
	v_div_scale_f32 v8, vcc, v3, v4, v3
	v_rcp_f32_e32 v13, v7
	v_fma_f32 v14, -v7, v13, 1.0
	v_fmac_f32_e32 v13, v14, v13
	v_mul_f32_e32 v14, v8, v13
	v_fma_f32 v15, -v7, v14, v8
	v_fmac_f32_e32 v14, v15, v13
	v_fma_f32 v7, -v7, v14, v8
	v_div_fmas_f32 v7, v7, v13, v14
	v_div_fixup_f32 v7, v7, v4, v3
	v_fmac_f32_e32 v4, v3, v7
	v_div_scale_f32 v3, s[52:53], v4, v4, 1.0
	v_div_scale_f32 v8, vcc, 1.0, v4, 1.0
	v_rcp_f32_e32 v13, v3
	v_fma_f32 v14, -v3, v13, 1.0
	v_fmac_f32_e32 v13, v14, v13
	v_mul_f32_e32 v14, v8, v13
	v_fma_f32 v15, -v3, v14, v8
	v_fmac_f32_e32 v14, v15, v13
	v_fma_f32 v3, -v3, v14, v8
	v_div_fmas_f32 v3, v3, v13, v14
	v_fma_f32 v8, v7, v5, v6
	v_fma_f32 v5, v7, v6, -v5
	v_div_fixup_f32 v3, v3, v4, 1.0
	v_mul_f32_e32 v7, v3, v8
	v_mul_f32_e32 v8, v3, v5
                                        ; implicit-def: $vgpr3_vgpr4
                                        ; implicit-def: $vgpr5_vgpr6
.LBB12_120:                             ;   in Loop: Header=BB12_116 Depth=2
	s_andn2_saveexec_b64 s[46:47], s[46:47]
	s_cbranch_execz .LBB12_122
; %bb.121:                              ;   in Loop: Header=BB12_116 Depth=2
	v_div_scale_f32 v7, s[52:53], v3, v3, v4
	v_div_scale_f32 v8, vcc, v4, v3, v4
	v_rcp_f32_e32 v13, v7
	v_fma_f32 v14, -v7, v13, 1.0
	v_fmac_f32_e32 v13, v14, v13
	v_mul_f32_e32 v14, v8, v13
	v_fma_f32 v15, -v7, v14, v8
	v_fmac_f32_e32 v14, v15, v13
	v_fma_f32 v7, -v7, v14, v8
	v_div_fmas_f32 v7, v7, v13, v14
	v_div_fixup_f32 v7, v7, v3, v4
	v_fmac_f32_e32 v3, v4, v7
	v_div_scale_f32 v4, s[52:53], v3, v3, 1.0
	v_div_scale_f32 v8, vcc, 1.0, v3, 1.0
	v_rcp_f32_e32 v13, v4
	v_fma_f32 v14, -v4, v13, 1.0
	v_fmac_f32_e32 v13, v14, v13
	v_mul_f32_e32 v14, v8, v13
	v_fma_f32 v15, -v4, v14, v8
	v_fmac_f32_e32 v14, v15, v13
	v_fma_f32 v4, -v4, v14, v8
	v_div_fmas_f32 v4, v4, v13, v14
	v_fma_f32 v8, v7, v6, v5
	v_fma_f32 v5, -v7, v5, v6
	v_div_fixup_f32 v3, v4, v3, 1.0
	v_mul_f32_e32 v7, v3, v8
	v_mul_f32_e32 v8, v3, v5
.LBB12_122:                             ;   in Loop: Header=BB12_116 Depth=2
	s_or_b64 exec, exec, s[46:47]
	ds_write_b64 v9, v[7:8]
.LBB12_123:                             ;   in Loop: Header=BB12_116 Depth=2
	s_or_b64 exec, exec, s[2:3]
	v_cmp_lt_u32_e32 vcc, s49, v0
	v_cmp_ge_i32_e64 s[2:3], s50, v12
	s_and_b64 s[46:47], s[42:43], vcc
	s_and_b64 s[46:47], s[46:47], s[2:3]
	s_waitcnt lgkmcnt(0)
	s_barrier
	s_and_saveexec_b64 s[2:3], s[46:47]
	s_cbranch_execz .LBB12_125
; %bb.124:                              ;   in Loop: Header=BB12_116 Depth=2
	v_lshlrev_b64 v[3:4], 3, v[1:2]
	v_mov_b32_e32 v5, s45
	v_add_co_u32_e32 v3, vcc, s44, v3
	v_addc_co_u32_e32 v4, vcc, v5, v4, vcc
	flat_load_dwordx2 v[3:4], v[3:4]
	v_mov_b32_e32 v5, s48
	ds_read_b64 v[5:6], v5
	ds_read_b64 v[7:8], v9
	s_waitcnt vmcnt(0) lgkmcnt(0)
	v_mul_f32_e32 v13, v6, v4
	v_mul_f32_e32 v4, v5, v4
	v_fma_f32 v5, v5, v3, -v13
	v_fmac_f32_e32 v4, v6, v3
	v_sub_f32_e32 v3, v7, v5
	v_sub_f32_e32 v4, v8, v4
	ds_write_b64 v9, v[3:4]
.LBB12_125:                             ;   in Loop: Header=BB12_116 Depth=2
	s_or_b64 exec, exec, s[2:3]
	s_add_i32 s49, s49, 1
	s_add_i32 s48, s48, 8
	s_add_u32 s44, s44, s26
	s_addc_u32 s45, s45, s27
	s_cmpk_eq_i32 s49, 0x200
	v_add_u32_e32 v1, -1, v1
	s_cselect_b64 s[2:3], -1, 0
	s_and_b64 vcc, exec, s[2:3]
	s_cbranch_vccz .LBB12_116
.LBB12_126:                             ;   in Loop: Header=BB12_112 Depth=1
	s_add_i32 s60, s59, 0x200
	s_cmp_ge_i32 s60, s9
	s_cselect_b64 s[2:3], -1, 0
	s_and_b64 vcc, exec, s[2:3]
	s_waitcnt lgkmcnt(0)
	s_barrier
	s_cbranch_vccnz .LBB12_146
; %bb.127:                              ;   in Loop: Header=BB12_112 Depth=1
	v_ashrrev_i32_e32 v1, 31, v10
	v_mov_b32_e32 v4, s31
	v_add_co_u32_e32 v3, vcc, s30, v10
	v_addc_co_u32_e32 v4, vcc, v4, v1, vcc
	v_mov_b32_e32 v6, s35
	v_add_co_u32_e32 v5, vcc, s34, v10
	v_addc_co_u32_e32 v6, vcc, v6, v1, vcc
	v_lshlrev_b64 v[3:4], 3, v[3:4]
	v_lshlrev_b64 v[5:6], 3, v[5:6]
	s_mov_b64 s[42:43], 0
	v_mov_b32_e32 v1, v0
	s_mov_b64 s[44:45], s[38:39]
	s_mov_b32 s61, s60
                                        ; implicit-def: $sgpr46_sgpr47
	s_branch .LBB12_130
.LBB12_128:                             ;   in Loop: Header=BB12_130 Depth=2
	v_mad_u64_u32 v[13:14], s[50:51], s6, v12, 0
	s_addk_i32 s61, 0x200
	s_add_u32 s44, s44, 0x1000
	v_mad_u64_u32 v[14:15], s[50:51], s7, v12, v[14:15]
	v_mov_b32_e32 v15, s33
	s_addc_u32 s45, s45, 0
	v_lshlrev_b64 v[12:13], 3, v[13:14]
	s_cmp_ge_i32 s61, s9
	v_add_co_u32_e32 v12, vcc, s8, v12
	v_addc_co_u32_e32 v13, vcc, v15, v13, vcc
	flat_load_dwordx2 v[14:15], v[12:13]
	s_cselect_b64 s[50:51], -1, 0
	s_andn2_b64 s[46:47], s[46:47], exec
	s_and_b64 s[50:51], s[50:51], exec
	s_or_b64 s[46:47], s[46:47], s[50:51]
	s_waitcnt vmcnt(0) lgkmcnt(0)
	v_sub_f32_e32 v14, v14, v8
	v_sub_f32_e32 v15, v15, v7
	flat_store_dwordx2 v[12:13], v[14:15]
.LBB12_129:                             ;   in Loop: Header=BB12_130 Depth=2
	s_or_b64 exec, exec, s[48:49]
	s_and_b64 s[48:49], exec, s[46:47]
	s_or_b64 s[42:43], s[48:49], s[42:43]
	s_andn2_b64 exec, exec, s[42:43]
	s_cbranch_execz .LBB12_145
.LBB12_130:                             ;   Parent Loop BB12_112 Depth=1
                                        ; =>  This Loop Header: Depth=2
                                        ;       Child Loop BB12_133 Depth 3
	v_add_u32_e32 v12, s61, v0
	v_cmp_gt_i32_e32 vcc, s9, v12
	s_or_b64 s[46:47], s[46:47], exec
	s_and_saveexec_b64 s[48:49], vcc
	s_cbranch_execz .LBB12_129
; %bb.131:                              ;   in Loop: Header=BB12_130 Depth=2
	v_subrev_u32_e32 v13, s10, v12
	v_add_u32_e32 v14, 0x1ff, v1
	v_add_u32_e32 v1, 0x200, v1
	v_mov_b32_e32 v7, 0
	s_mov_b32 s62, 0
	s_mov_b64 s[50:51], s[12:13]
	s_mov_b64 s[52:53], s[28:29]
	s_mov_b32 s63, 0
	v_mov_b32_e32 v8, 0
	s_branch .LBB12_133
.LBB12_132:                             ;   in Loop: Header=BB12_133 Depth=3
	s_or_b64 exec, exec, s[54:55]
	s_add_i32 s63, s63, 2
	s_add_u32 s52, s52, s11
	s_addc_u32 s53, s53, s58
	s_add_i32 s62, s62, 16
	s_add_u32 s50, s50, s11
	s_addc_u32 s51, s51, s58
	s_cmpk_eq_i32 s63, 0x200
	s_cbranch_scc1 .LBB12_128
.LBB12_133:                             ;   Parent Loop BB12_112 Depth=1
                                        ;     Parent Loop BB12_130 Depth=2
                                        ; =>    This Inner Loop Header: Depth=3
	v_cmp_ne_u32_e32 vcc, s63, v1
	s_add_i32 s64, s59, s63
	s_or_b64 s[54:55], s[36:37], vcc
	s_and_saveexec_b64 s[56:57], s[54:55]
	s_xor_b64 s[54:55], exec, s[56:57]
	s_cbranch_execz .LBB12_137
; %bb.134:                              ;   in Loop: Header=BB12_133 Depth=3
	s_cmp_lt_i32 s64, s9
	s_cselect_b64 s[56:57], -1, 0
	v_cmp_ge_i32_e32 vcc, s64, v13
	s_and_b64 s[66:67], s[56:57], vcc
	s_and_saveexec_b64 s[56:57], s[66:67]
	s_cbranch_execz .LBB12_136
; %bb.135:                              ;   in Loop: Header=BB12_133 Depth=3
	s_add_u32 s65, s50, s20
	s_addc_u32 s66, s51, s21
	v_mov_b32_e32 v15, s66
	v_add_co_u32_e32 v16, vcc, s65, v5
	v_addc_co_u32_e32 v17, vcc, v15, v6, vcc
	v_mov_b32_e32 v18, s45
	v_add_co_u32_e32 v15, vcc, s44, v16
	v_addc_co_u32_e32 v16, vcc, v17, v18, vcc
	flat_load_dwordx2 v[15:16], v[15:16]
	v_mov_b32_e32 v17, s62
	ds_read_b64 v[17:18], v17
	s_waitcnt vmcnt(0) lgkmcnt(0)
	v_mul_f32_e32 v19, v18, v16
	v_mul_f32_e32 v16, v17, v16
	v_fma_f32 v17, v17, v15, -v19
	v_fmac_f32_e32 v16, v18, v15
	v_add_f32_e32 v8, v8, v17
	v_add_f32_e32 v7, v7, v16
.LBB12_136:                             ;   in Loop: Header=BB12_133 Depth=3
	s_or_b64 exec, exec, s[56:57]
.LBB12_137:                             ;   in Loop: Header=BB12_133 Depth=3
	s_andn2_saveexec_b64 s[54:55], s[54:55]
	s_cbranch_execz .LBB12_139
; %bb.138:                              ;   in Loop: Header=BB12_133 Depth=3
	v_mov_b32_e32 v15, s62
	ds_read_b64 v[15:16], v15
	s_waitcnt lgkmcnt(0)
	v_add_f32_e32 v8, v8, v15
	v_add_f32_e32 v7, v7, v16
.LBB12_139:                             ;   in Loop: Header=BB12_133 Depth=3
	s_or_b64 exec, exec, s[54:55]
	v_cmp_ne_u32_e32 vcc, s63, v14
	s_or_b64 s[54:55], s[36:37], vcc
	s_and_saveexec_b64 s[56:57], s[54:55]
	s_xor_b64 s[54:55], exec, s[56:57]
	s_cbranch_execz .LBB12_143
; %bb.140:                              ;   in Loop: Header=BB12_133 Depth=3
	s_add_i32 s64, s64, 1
	s_cmp_lt_i32 s64, s9
	s_cselect_b64 s[56:57], -1, 0
	v_cmp_ge_i32_e32 vcc, s64, v13
	s_and_b64 s[64:65], s[56:57], vcc
	s_and_saveexec_b64 s[56:57], s[64:65]
	s_cbranch_execz .LBB12_142
; %bb.141:                              ;   in Loop: Header=BB12_133 Depth=3
	s_add_u32 s64, s52, s20
	s_addc_u32 s65, s53, s21
	v_mov_b32_e32 v15, s65
	v_add_co_u32_e32 v16, vcc, s64, v3
	v_addc_co_u32_e32 v17, vcc, v15, v4, vcc
	v_mov_b32_e32 v18, s45
	v_add_co_u32_e32 v15, vcc, s44, v16
	v_addc_co_u32_e32 v16, vcc, v17, v18, vcc
	flat_load_dwordx2 v[15:16], v[15:16]
	v_mov_b32_e32 v17, s62
	ds_read_b64 v[17:18], v17 offset:8
	s_waitcnt vmcnt(0) lgkmcnt(0)
	v_mul_f32_e32 v19, v18, v16
	v_mul_f32_e32 v16, v17, v16
	v_fma_f32 v17, v17, v15, -v19
	v_fmac_f32_e32 v16, v18, v15
	v_add_f32_e32 v8, v8, v17
	v_add_f32_e32 v7, v7, v16
.LBB12_142:                             ;   in Loop: Header=BB12_133 Depth=3
	s_or_b64 exec, exec, s[56:57]
.LBB12_143:                             ;   in Loop: Header=BB12_133 Depth=3
	s_andn2_saveexec_b64 s[54:55], s[54:55]
	s_cbranch_execz .LBB12_132
; %bb.144:                              ;   in Loop: Header=BB12_133 Depth=3
	v_mov_b32_e32 v15, s62
	ds_read_b64 v[15:16], v15 offset:8
	s_waitcnt lgkmcnt(0)
	v_add_f32_e32 v8, v8, v15
	v_add_f32_e32 v7, v7, v16
	s_branch .LBB12_132
.LBB12_145:                             ;   in Loop: Header=BB12_112 Depth=1
	s_or_b64 exec, exec, s[42:43]
.LBB12_146:                             ;   in Loop: Header=BB12_112 Depth=1
	s_and_saveexec_b64 s[42:43], s[0:1]
	s_cbranch_execz .LBB12_111
; %bb.147:                              ;   in Loop: Header=BB12_112 Depth=1
	v_mad_u64_u32 v[3:4], s[0:1], s6, v11, 0
	v_mov_b32_e32 v1, v4
	v_mad_u64_u32 v[4:5], s[0:1], s7, v11, v[1:2]
	ds_read_b64 v[5:6], v9
	v_mov_b32_e32 v1, s33
	v_lshlrev_b64 v[3:4], 3, v[3:4]
	v_add_co_u32_e32 v3, vcc, s8, v3
	v_addc_co_u32_e32 v4, vcc, v1, v4, vcc
	s_waitcnt lgkmcnt(0)
	flat_store_dwordx2 v[3:4], v[5:6]
	s_branch .LBB12_111
.LBB12_148:
	s_mov_b64 s[0:1], 0
.LBB12_149:
	s_andn2_b64 vcc, exec, s[0:1]
	s_cbranch_vccnz .LBB12_189
; %bb.150:
	s_andn2_b64 vcc, exec, s[22:23]
	s_cbranch_vccnz .LBB12_189
; %bb.151:
	s_ashr_i32 s11, s10, 31
	s_add_i32 s26, s9, 0xfffffe00
	s_add_i32 s22, s9, -1
	s_lshl_b64 s[0:1], s[10:11], 3
	s_add_u32 s2, s20, s0
	s_addc_u32 s3, s21, s1
	s_ashr_i32 s23, s22, 31
	s_lshl_b64 s[0:1], s[22:23], 3
	s_sub_u32 s0, s2, s0
	s_subb_u32 s1, s3, s1
	s_add_u32 s20, s12, s0
	s_addc_u32 s21, s13, s1
	s_lshl_b64 s[24:25], s[16:17], 3
	s_add_u32 s23, s24, 8
	s_addc_u32 s36, s25, 0
	s_sub_i32 s0, s10, s9
	s_add_i32 s37, s0, 0x1ff
	s_add_u32 s0, s14, s10
	s_addc_u32 s1, s15, s11
	s_ashr_i32 s3, s9, 31
	s_mov_b32 s2, s9
	s_lshl_b64 s[0:1], s[0:1], 3
	s_lshl_b64 s[2:3], s[2:3], 3
	s_sub_u32 s0, s0, s2
	s_subb_u32 s1, s1, s3
	s_add_u32 s0, s12, s0
	s_addc_u32 s1, s13, s1
	s_add_u32 s11, s0, 0x1000
	s_addc_u32 s38, s1, 0
	s_lshl_b64 s[0:1], s[16:17], 4
	v_mov_b32_e32 v1, 0x2000
	v_add_u32_e32 v2, s9, v0
	s_add_u32 s39, s0, -16
	v_lshl_or_b32 v14, v0, 3, v1
	v_add_u32_e32 v1, 0xfffffe00, v2
	v_add_u32_e32 v15, 0xfffffc00, v2
	s_addc_u32 s40, s1, -1
	v_mov_b32_e32 v3, 0
	s_xor_b64 s[12:13], s[18:19], -1
	s_branch .LBB12_153
.LBB12_152:                             ;   in Loop: Header=BB12_153 Depth=1
	s_or_b64 exec, exec, s[14:15]
	s_addk_i32 s22, 0xfe00
	s_add_u32 s20, s20, 0x1000
	s_addc_u32 s21, s21, 0
	s_addk_i32 s9, 0xfe00
	s_addk_i32 s37, 0x200
	s_add_u32 s11, s11, 0x1000
	v_add_u32_e32 v1, 0xfffffe00, v1
	s_addc_u32 s38, s38, 0
	v_add_u32_e32 v15, 0xfffffe00, v15
	s_and_b64 vcc, exec, s[2:3]
	s_mov_b32 s26, s41
	s_waitcnt vmcnt(0) lgkmcnt(0)
	s_barrier
	s_cbranch_vccnz .LBB12_189
.LBB12_153:                             ; =>This Loop Header: Depth=1
                                        ;     Child Loop BB12_158 Depth 2
                                        ;     Child Loop BB12_171 Depth 2
                                        ;       Child Loop BB12_174 Depth 3
	v_add_u32_e32 v16, s26, v0
	v_cmp_gt_i32_e32 vcc, 0, v16
	v_cmp_lt_i32_e64 s[0:1], -1, v16
	s_and_saveexec_b64 s[14:15], s[0:1]
	s_cbranch_execz .LBB12_155
; %bb.154:                              ;   in Loop: Header=BB12_153 Depth=1
	v_mad_u64_u32 v[4:5], s[2:3], s6, v16, 0
	v_mov_b32_e32 v2, v5
	v_mad_u64_u32 v[5:6], s[2:3], s7, v16, v[2:3]
	v_mov_b32_e32 v2, s33
	v_lshlrev_b64 v[4:5], 3, v[4:5]
	v_add_co_u32_e64 v4, s[2:3], s8, v4
	v_addc_co_u32_e64 v5, s[2:3], v2, v5, s[2:3]
	flat_load_dwordx2 v[4:5], v[4:5]
	s_waitcnt vmcnt(0) lgkmcnt(0)
	ds_write_b64 v14, v[4:5]
.LBB12_155:                             ;   in Loop: Header=BB12_153 Depth=1
	s_or_b64 exec, exec, s[14:15]
	v_mov_b32_e32 v2, v3
	v_lshlrev_b64 v[4:5], 3, v[1:2]
	v_mov_b32_e32 v2, s21
	v_add_co_u32_e64 v4, s[2:3], s20, v4
	v_mov_b32_e32 v6, s20
	v_addc_co_u32_e64 v5, s[2:3], v2, v5, s[2:3]
	v_add_u32_e32 v2, s10, v16
	s_movk_i32 s27, 0x1ff
	s_movk_i32 s28, 0x2ff8
	v_mov_b32_e32 v7, s21
	s_xor_b64 s[14:15], vcc, -1
	s_mov_b32 s29, s22
	s_waitcnt lgkmcnt(0)
	s_barrier
	s_branch .LBB12_158
.LBB12_156:                             ;   in Loop: Header=BB12_158 Depth=2
	s_or_b64 exec, exec, s[2:3]
	v_add_co_u32_e32 v4, vcc, 8, v4
	s_add_i32 s27, s27, -1
	s_add_i32 s28, s28, -8
	v_addc_co_u32_e32 v5, vcc, 0, v5, vcc
	s_add_i32 s29, s29, -1
	v_add_co_u32_e32 v6, vcc, 8, v6
	s_cmp_eq_u32 s27, -1
	v_addc_co_u32_e32 v7, vcc, 0, v7, vcc
	s_cselect_b64 s[2:3], -1, 0
.LBB12_157:                             ;   in Loop: Header=BB12_158 Depth=2
	s_and_b64 vcc, exec, s[2:3]
	s_cbranch_vccnz .LBB12_167
.LBB12_158:                             ;   Parent Loop BB12_153 Depth=1
                                        ; =>  This Inner Loop Header: Depth=2
	s_add_i32 s30, s22, s27
	s_addk_i32 s30, 0xfe01
	s_cmp_lt_i32 s30, 0
	s_mov_b64 s[2:3], -1
	s_cbranch_scc1 .LBB12_157
; %bb.159:                              ;   in Loop: Header=BB12_158 Depth=2
	v_cmp_eq_u32_e32 vcc, s27, v0
	s_and_b64 s[18:19], s[12:13], vcc
	s_and_saveexec_b64 s[2:3], s[18:19]
	s_cbranch_execz .LBB12_165
; %bb.160:                              ;   in Loop: Header=BB12_158 Depth=2
	s_mul_i32 s18, s36, s29
	s_mul_hi_u32 s19, s23, s29
	s_add_i32 s18, s19, s18
	s_mul_i32 s19, s23, s29
	v_mov_b32_e32 v9, s18
	v_add_co_u32_e32 v8, vcc, s19, v6
	v_addc_co_u32_e32 v9, vcc, v7, v9, vcc
	flat_load_dwordx2 v[8:9], v[8:9]
	ds_read_b64 v[10:11], v14
                                        ; implicit-def: $vgpr12
	s_waitcnt vmcnt(0) lgkmcnt(0)
	v_cmp_ngt_f32_e64 s[18:19], |v8|, |v9|
	s_and_saveexec_b64 s[34:35], s[18:19]
	s_xor_b64 s[18:19], exec, s[34:35]
	s_cbranch_execz .LBB12_162
; %bb.161:                              ;   in Loop: Header=BB12_158 Depth=2
	v_div_scale_f32 v12, s[34:35], v9, v9, v8
	v_div_scale_f32 v13, vcc, v8, v9, v8
	v_rcp_f32_e32 v17, v12
	v_fma_f32 v18, -v12, v17, 1.0
	v_fmac_f32_e32 v17, v18, v17
	v_mul_f32_e32 v18, v13, v17
	v_fma_f32 v19, -v12, v18, v13
	v_fmac_f32_e32 v18, v19, v17
	v_fma_f32 v12, -v12, v18, v13
	v_div_fmas_f32 v12, v12, v17, v18
	v_div_fixup_f32 v12, v12, v9, v8
	v_fmac_f32_e32 v9, v8, v12
	v_div_scale_f32 v8, s[34:35], v9, v9, 1.0
	v_div_scale_f32 v13, vcc, 1.0, v9, 1.0
	v_rcp_f32_e32 v17, v8
	v_fma_f32 v18, -v8, v17, 1.0
	v_fmac_f32_e32 v17, v18, v17
	v_mul_f32_e32 v18, v13, v17
	v_fma_f32 v19, -v8, v18, v13
	v_fmac_f32_e32 v18, v19, v17
	v_fma_f32 v8, -v8, v18, v13
	v_div_fmas_f32 v8, v8, v17, v18
	v_fma_f32 v13, v12, v10, v11
	v_fma_f32 v10, v12, v11, -v10
	v_div_fixup_f32 v8, v8, v9, 1.0
	v_mul_f32_e32 v12, v8, v13
	v_mul_f32_e32 v13, v8, v10
                                        ; implicit-def: $vgpr8_vgpr9
                                        ; implicit-def: $vgpr10_vgpr11
.LBB12_162:                             ;   in Loop: Header=BB12_158 Depth=2
	s_andn2_saveexec_b64 s[18:19], s[18:19]
	s_cbranch_execz .LBB12_164
; %bb.163:                              ;   in Loop: Header=BB12_158 Depth=2
	v_div_scale_f32 v12, s[34:35], v8, v8, v9
	v_div_scale_f32 v13, vcc, v9, v8, v9
	v_rcp_f32_e32 v17, v12
	v_fma_f32 v18, -v12, v17, 1.0
	v_fmac_f32_e32 v17, v18, v17
	v_mul_f32_e32 v18, v13, v17
	v_fma_f32 v19, -v12, v18, v13
	v_fmac_f32_e32 v18, v19, v17
	v_fma_f32 v12, -v12, v18, v13
	v_div_fmas_f32 v12, v12, v17, v18
	v_div_fixup_f32 v12, v12, v8, v9
	v_fmac_f32_e32 v8, v9, v12
	v_div_scale_f32 v9, s[34:35], v8, v8, 1.0
	v_div_scale_f32 v13, vcc, 1.0, v8, 1.0
	v_rcp_f32_e32 v17, v9
	v_fma_f32 v18, -v9, v17, 1.0
	v_fmac_f32_e32 v17, v18, v17
	v_mul_f32_e32 v18, v13, v17
	v_fma_f32 v19, -v9, v18, v13
	v_fmac_f32_e32 v18, v19, v17
	v_fma_f32 v9, -v9, v18, v13
	v_div_fmas_f32 v9, v9, v17, v18
	v_fma_f32 v13, v12, v11, v10
	v_fma_f32 v10, -v12, v10, v11
	v_div_fixup_f32 v8, v9, v8, 1.0
	v_mul_f32_e32 v12, v8, v13
	v_mul_f32_e32 v13, v8, v10
.LBB12_164:                             ;   in Loop: Header=BB12_158 Depth=2
	s_or_b64 exec, exec, s[18:19]
	ds_write_b64 v14, v[12:13]
.LBB12_165:                             ;   in Loop: Header=BB12_158 Depth=2
	s_or_b64 exec, exec, s[2:3]
	v_cmp_gt_u32_e32 vcc, s27, v0
	v_cmp_le_i32_e64 s[2:3], s30, v2
	s_and_b64 s[18:19], s[14:15], vcc
	s_and_b64 s[18:19], s[18:19], s[2:3]
	s_waitcnt lgkmcnt(0)
	s_barrier
	s_and_saveexec_b64 s[2:3], s[18:19]
	s_cbranch_execz .LBB12_156
; %bb.166:                              ;   in Loop: Header=BB12_158 Depth=2
	v_mov_b32_e32 v8, s29
	v_mad_u64_u32 v[8:9], s[18:19], s24, v8, v[4:5]
	s_mul_i32 s18, s25, s29
	v_mov_b32_e32 v10, s28
	v_add_u32_e32 v9, s18, v9
	flat_load_dwordx2 v[8:9], v[8:9]
	ds_read_b64 v[10:11], v10
	ds_read_b64 v[12:13], v14
	s_waitcnt vmcnt(0) lgkmcnt(0)
	v_mul_f32_e32 v17, v11, v9
	v_mul_f32_e32 v9, v10, v9
	v_fma_f32 v10, v10, v8, -v17
	v_fmac_f32_e32 v9, v11, v8
	v_sub_f32_e32 v8, v12, v10
	v_sub_f32_e32 v9, v13, v9
	ds_write_b64 v14, v[8:9]
	s_branch .LBB12_156
.LBB12_167:                             ;   in Loop: Header=BB12_153 Depth=1
	s_add_i32 s41, s26, 0xfffffe00
	s_cmp_lt_i32 s26, 1
	s_cselect_b64 s[2:3], -1, 0
	s_and_b64 vcc, exec, s[2:3]
	s_waitcnt lgkmcnt(0)
	s_barrier
	s_cbranch_vccnz .LBB12_187
; %bb.168:                              ;   in Loop: Header=BB12_153 Depth=1
	s_mul_i32 s14, s25, s26
	s_mul_hi_u32 s15, s24, s26
	s_add_i32 s15, s15, s14
	s_mul_i32 s14, s24, s26
	s_add_u32 s42, s11, s14
	s_addc_u32 s43, s38, s15
	s_mov_b64 s[14:15], 0
	v_mov_b32_e32 v4, v15
	v_mov_b32_e32 v7, v0
	s_mov_b32 s44, s41
                                        ; implicit-def: $sgpr18_sgpr19
	s_branch .LBB12_171
.LBB12_169:                             ;   in Loop: Header=BB12_171 Depth=2
	v_mad_u64_u32 v[5:6], s[28:29], s6, v2, 0
	s_add_i32 s30, s44, 0xfffffe00
	s_cmp_lt_i32 s44, 1
	v_mad_u64_u32 v[10:11], s[28:29], s7, v2, v[6:7]
	v_mov_b32_e32 v2, s33
	s_cselect_b64 s[28:29], -1, 0
	v_mov_b32_e32 v6, v10
	v_lshlrev_b64 v[5:6], 3, v[5:6]
	s_andn2_b64 s[18:19], s[18:19], exec
	v_add_co_u32_e32 v5, vcc, s8, v5
	v_addc_co_u32_e32 v6, vcc, v2, v6, vcc
	flat_load_dwordx2 v[10:11], v[5:6]
	s_and_b64 s[28:29], s[28:29], exec
	v_add_u32_e32 v4, 0xfffffe00, v4
	s_or_b64 s[18:19], s[18:19], s[28:29]
	s_mov_b32 s44, s30
	s_waitcnt vmcnt(0) lgkmcnt(0)
	v_sub_f32_e32 v9, v10, v9
	v_sub_f32_e32 v10, v11, v8
	flat_store_dwordx2 v[5:6], v[9:10]
.LBB12_170:                             ;   in Loop: Header=BB12_171 Depth=2
	s_or_b64 exec, exec, s[26:27]
	s_and_b64 s[26:27], exec, s[18:19]
	s_or_b64 s[14:15], s[26:27], s[14:15]
	s_andn2_b64 exec, exec, s[14:15]
	s_cbranch_execz .LBB12_186
.LBB12_171:                             ;   Parent Loop BB12_153 Depth=1
                                        ; =>  This Loop Header: Depth=2
                                        ;       Child Loop BB12_174 Depth 3
	v_add_u32_e32 v2, s44, v0
	v_cmp_lt_i32_e32 vcc, -1, v2
	s_or_b64 s[18:19], s[18:19], exec
	s_and_saveexec_b64 s[26:27], vcc
	s_cbranch_execz .LBB12_170
; %bb.172:                              ;   in Loop: Header=BB12_171 Depth=2
	v_mov_b32_e32 v5, v3
	v_lshlrev_b64 v[5:6], 3, v[4:5]
	v_mov_b32_e32 v8, s43
	v_add_co_u32_e32 v5, vcc, s42, v5
	v_addc_co_u32_e32 v6, vcc, v8, v6, vcc
	v_lshlrev_b64 v[8:9], 3, v[2:3]
	v_mov_b32_e32 v11, s5
	v_add_co_u32_e32 v10, vcc, s4, v8
	v_addc_co_u32_e32 v11, vcc, v11, v9, vcc
	v_add_u32_e32 v12, s10, v2
	v_add_u32_e32 v13, 0xfffffdff, v7
	;; [unrolled: 1-line block ×3, first 2 shown]
	v_mov_b32_e32 v8, 0
	s_mov_b32 s45, 0
	s_movk_i32 s46, 0x2000
	s_mov_b32 s28, s37
	v_mov_b32_e32 v9, 0
	s_branch .LBB12_174
.LBB12_173:                             ;   in Loop: Header=BB12_174 Depth=3
	s_or_b64 exec, exec, s[30:31]
	s_add_i32 s45, s45, 2
	s_add_i32 s46, s46, 16
	s_add_i32 s28, s28, -2
	v_mov_b32_e32 v17, s40
	v_add_co_u32_e32 v5, vcc, s39, v5
	s_cmpk_eq_i32 s45, 0x200
	v_addc_co_u32_e32 v6, vcc, v6, v17, vcc
	s_cbranch_scc1 .LBB12_169
.LBB12_174:                             ;   Parent Loop BB12_153 Depth=1
                                        ;     Parent Loop BB12_171 Depth=2
                                        ; =>    This Inner Loop Header: Depth=3
	v_cmp_ne_u32_e32 vcc, s45, v7
	s_add_i32 s29, s9, s45
	s_or_b64 s[30:31], s[12:13], vcc
	s_and_saveexec_b64 s[34:35], s[30:31]
	s_xor_b64 s[30:31], exec, s[34:35]
	s_cbranch_execz .LBB12_178
; %bb.175:                              ;   in Loop: Header=BB12_174 Depth=3
	s_add_i32 s34, s29, 0xfffffe00
	v_cmp_le_i32_e32 vcc, s34, v12
	s_and_saveexec_b64 s[34:35], vcc
	s_cbranch_execz .LBB12_177
; %bb.176:                              ;   in Loop: Header=BB12_174 Depth=3
	flat_load_dwordx2 v[17:18], v[5:6]
	v_mov_b32_e32 v19, s46
	ds_read_b64 v[19:20], v19
	s_waitcnt vmcnt(0) lgkmcnt(0)
	v_mul_f32_e32 v21, v20, v18
	v_mul_f32_e32 v18, v19, v18
	v_fma_f32 v19, v19, v17, -v21
	v_fmac_f32_e32 v18, v20, v17
	v_add_f32_e32 v9, v9, v19
	v_add_f32_e32 v8, v8, v18
.LBB12_177:                             ;   in Loop: Header=BB12_174 Depth=3
	s_or_b64 exec, exec, s[34:35]
.LBB12_178:                             ;   in Loop: Header=BB12_174 Depth=3
	s_andn2_saveexec_b64 s[30:31], s[30:31]
	s_cbranch_execz .LBB12_180
; %bb.179:                              ;   in Loop: Header=BB12_174 Depth=3
	v_mov_b32_e32 v17, s46
	ds_read_b64 v[17:18], v17
	s_waitcnt lgkmcnt(0)
	v_add_f32_e32 v9, v9, v17
	v_add_f32_e32 v8, v8, v18
.LBB12_180:                             ;   in Loop: Header=BB12_174 Depth=3
	s_or_b64 exec, exec, s[30:31]
	v_cmp_ne_u32_e32 vcc, s45, v13
	s_or_b64 s[30:31], s[12:13], vcc
	s_and_saveexec_b64 s[34:35], s[30:31]
	s_xor_b64 s[30:31], exec, s[34:35]
	s_cbranch_execz .LBB12_184
; %bb.181:                              ;   in Loop: Header=BB12_174 Depth=3
	s_addk_i32 s29, 0xfe01
	v_cmp_le_i32_e32 vcc, s29, v12
	s_and_saveexec_b64 s[34:35], vcc
	s_cbranch_execz .LBB12_183
; %bb.182:                              ;   in Loop: Header=BB12_174 Depth=3
	s_mul_i32 s47, s17, s29
	s_mul_hi_u32 s48, s16, s29
	s_add_i32 s49, s48, s47
	s_mul_i32 s48, s16, s29
	s_lshl_b64 s[48:49], s[48:49], 3
	s_ashr_i32 s29, s28, 31
	v_mov_b32_e32 v17, s49
	v_add_co_u32_e32 v18, vcc, s48, v10
	v_addc_co_u32_e32 v19, vcc, v11, v17, vcc
	s_lshl_b64 s[48:49], s[28:29], 3
	v_mov_b32_e32 v20, s49
	v_add_co_u32_e32 v17, vcc, s48, v18
	v_addc_co_u32_e32 v18, vcc, v19, v20, vcc
	flat_load_dwordx2 v[17:18], v[17:18]
	v_mov_b32_e32 v19, s46
	ds_read_b64 v[19:20], v19 offset:8
	s_waitcnt vmcnt(0) lgkmcnt(0)
	v_mul_f32_e32 v21, v20, v18
	v_mul_f32_e32 v18, v19, v18
	v_fma_f32 v19, v19, v17, -v21
	v_fmac_f32_e32 v18, v20, v17
	v_add_f32_e32 v9, v9, v19
	v_add_f32_e32 v8, v8, v18
.LBB12_183:                             ;   in Loop: Header=BB12_174 Depth=3
	s_or_b64 exec, exec, s[34:35]
.LBB12_184:                             ;   in Loop: Header=BB12_174 Depth=3
	s_andn2_saveexec_b64 s[30:31], s[30:31]
	s_cbranch_execz .LBB12_173
; %bb.185:                              ;   in Loop: Header=BB12_174 Depth=3
	v_mov_b32_e32 v17, s46
	ds_read_b64 v[17:18], v17 offset:8
	s_waitcnt lgkmcnt(0)
	v_add_f32_e32 v9, v9, v17
	v_add_f32_e32 v8, v8, v18
	s_branch .LBB12_173
.LBB12_186:                             ;   in Loop: Header=BB12_153 Depth=1
	s_or_b64 exec, exec, s[14:15]
.LBB12_187:                             ;   in Loop: Header=BB12_153 Depth=1
	s_and_saveexec_b64 s[14:15], s[0:1]
	s_cbranch_execz .LBB12_152
; %bb.188:                              ;   in Loop: Header=BB12_153 Depth=1
	v_mad_u64_u32 v[4:5], s[0:1], s6, v16, 0
	v_mov_b32_e32 v2, v5
	v_mad_u64_u32 v[5:6], s[0:1], s7, v16, v[2:3]
	ds_read_b64 v[6:7], v14
	v_mov_b32_e32 v2, s33
	v_lshlrev_b64 v[4:5], 3, v[4:5]
	v_add_co_u32_e32 v4, vcc, s8, v4
	v_addc_co_u32_e32 v5, vcc, v2, v5, vcc
	s_waitcnt lgkmcnt(0)
	flat_store_dwordx2 v[4:5], v[6:7]
	s_branch .LBB12_152
.LBB12_189:
	s_endpgm
	.section	.rodata,"a",@progbits
	.p2align	6, 0x0
	.amdhsa_kernel _ZL19rocblas_tbsv_kernelILb1ELi512EPKPK19rocblas_complex_numIfEPKPS1_Ev18rocblas_operation_bbiiT1_lllT2_lll
		.amdhsa_group_segment_fixed_size 16384
		.amdhsa_private_segment_fixed_size 0
		.amdhsa_kernarg_size 80
		.amdhsa_user_sgpr_count 6
		.amdhsa_user_sgpr_private_segment_buffer 1
		.amdhsa_user_sgpr_dispatch_ptr 0
		.amdhsa_user_sgpr_queue_ptr 0
		.amdhsa_user_sgpr_kernarg_segment_ptr 1
		.amdhsa_user_sgpr_dispatch_id 0
		.amdhsa_user_sgpr_flat_scratch_init 0
		.amdhsa_user_sgpr_private_segment_size 0
		.amdhsa_uses_dynamic_stack 0
		.amdhsa_system_sgpr_private_segment_wavefront_offset 0
		.amdhsa_system_sgpr_workgroup_id_x 1
		.amdhsa_system_sgpr_workgroup_id_y 0
		.amdhsa_system_sgpr_workgroup_id_z 0
		.amdhsa_system_sgpr_workgroup_info 0
		.amdhsa_system_vgpr_workitem_id 0
		.amdhsa_next_free_vgpr 29
		.amdhsa_next_free_sgpr 68
		.amdhsa_reserve_vcc 1
		.amdhsa_reserve_flat_scratch 0
		.amdhsa_float_round_mode_32 0
		.amdhsa_float_round_mode_16_64 0
		.amdhsa_float_denorm_mode_32 3
		.amdhsa_float_denorm_mode_16_64 3
		.amdhsa_dx10_clamp 1
		.amdhsa_ieee_mode 1
		.amdhsa_fp16_overflow 0
		.amdhsa_exception_fp_ieee_invalid_op 0
		.amdhsa_exception_fp_denorm_src 0
		.amdhsa_exception_fp_ieee_div_zero 0
		.amdhsa_exception_fp_ieee_overflow 0
		.amdhsa_exception_fp_ieee_underflow 0
		.amdhsa_exception_fp_ieee_inexact 0
		.amdhsa_exception_int_div_zero 0
	.end_amdhsa_kernel
	.section	.text._ZL19rocblas_tbsv_kernelILb1ELi512EPKPK19rocblas_complex_numIfEPKPS1_Ev18rocblas_operation_bbiiT1_lllT2_lll,"axG",@progbits,_ZL19rocblas_tbsv_kernelILb1ELi512EPKPK19rocblas_complex_numIfEPKPS1_Ev18rocblas_operation_bbiiT1_lllT2_lll,comdat
.Lfunc_end12:
	.size	_ZL19rocblas_tbsv_kernelILb1ELi512EPKPK19rocblas_complex_numIfEPKPS1_Ev18rocblas_operation_bbiiT1_lllT2_lll, .Lfunc_end12-_ZL19rocblas_tbsv_kernelILb1ELi512EPKPK19rocblas_complex_numIfEPKPS1_Ev18rocblas_operation_bbiiT1_lllT2_lll
                                        ; -- End function
	.set _ZL19rocblas_tbsv_kernelILb1ELi512EPKPK19rocblas_complex_numIfEPKPS1_Ev18rocblas_operation_bbiiT1_lllT2_lll.num_vgpr, 25
	.set _ZL19rocblas_tbsv_kernelILb1ELi512EPKPK19rocblas_complex_numIfEPKPS1_Ev18rocblas_operation_bbiiT1_lllT2_lll.num_agpr, 0
	.set _ZL19rocblas_tbsv_kernelILb1ELi512EPKPK19rocblas_complex_numIfEPKPS1_Ev18rocblas_operation_bbiiT1_lllT2_lll.numbered_sgpr, 68
	.set _ZL19rocblas_tbsv_kernelILb1ELi512EPKPK19rocblas_complex_numIfEPKPS1_Ev18rocblas_operation_bbiiT1_lllT2_lll.num_named_barrier, 0
	.set _ZL19rocblas_tbsv_kernelILb1ELi512EPKPK19rocblas_complex_numIfEPKPS1_Ev18rocblas_operation_bbiiT1_lllT2_lll.private_seg_size, 0
	.set _ZL19rocblas_tbsv_kernelILb1ELi512EPKPK19rocblas_complex_numIfEPKPS1_Ev18rocblas_operation_bbiiT1_lllT2_lll.uses_vcc, 1
	.set _ZL19rocblas_tbsv_kernelILb1ELi512EPKPK19rocblas_complex_numIfEPKPS1_Ev18rocblas_operation_bbiiT1_lllT2_lll.uses_flat_scratch, 0
	.set _ZL19rocblas_tbsv_kernelILb1ELi512EPKPK19rocblas_complex_numIfEPKPS1_Ev18rocblas_operation_bbiiT1_lllT2_lll.has_dyn_sized_stack, 0
	.set _ZL19rocblas_tbsv_kernelILb1ELi512EPKPK19rocblas_complex_numIfEPKPS1_Ev18rocblas_operation_bbiiT1_lllT2_lll.has_recursion, 0
	.set _ZL19rocblas_tbsv_kernelILb1ELi512EPKPK19rocblas_complex_numIfEPKPS1_Ev18rocblas_operation_bbiiT1_lllT2_lll.has_indirect_call, 0
	.section	.AMDGPU.csdata,"",@progbits
; Kernel info:
; codeLenInByte = 7524
; TotalNumSgprs: 72
; NumVgprs: 25
; ScratchSize: 0
; MemoryBound: 0
; FloatMode: 240
; IeeeMode: 1
; LDSByteSize: 16384 bytes/workgroup (compile time only)
; SGPRBlocks: 8
; VGPRBlocks: 7
; NumSGPRsForWavesPerEU: 72
; NumVGPRsForWavesPerEU: 29
; Occupancy: 8
; WaveLimiterHint : 1
; COMPUTE_PGM_RSRC2:SCRATCH_EN: 0
; COMPUTE_PGM_RSRC2:USER_SGPR: 6
; COMPUTE_PGM_RSRC2:TRAP_HANDLER: 0
; COMPUTE_PGM_RSRC2:TGID_X_EN: 1
; COMPUTE_PGM_RSRC2:TGID_Y_EN: 0
; COMPUTE_PGM_RSRC2:TGID_Z_EN: 0
; COMPUTE_PGM_RSRC2:TIDIG_COMP_CNT: 0
	.section	.text._ZL19rocblas_tbsv_kernelILb0ELi512EPKPK19rocblas_complex_numIfEPKPS1_Ev18rocblas_operation_bbiiT1_lllT2_lll,"axG",@progbits,_ZL19rocblas_tbsv_kernelILb0ELi512EPKPK19rocblas_complex_numIfEPKPS1_Ev18rocblas_operation_bbiiT1_lllT2_lll,comdat
	.globl	_ZL19rocblas_tbsv_kernelILb0ELi512EPKPK19rocblas_complex_numIfEPKPS1_Ev18rocblas_operation_bbiiT1_lllT2_lll ; -- Begin function _ZL19rocblas_tbsv_kernelILb0ELi512EPKPK19rocblas_complex_numIfEPKPS1_Ev18rocblas_operation_bbiiT1_lllT2_lll
	.p2align	8
	.type	_ZL19rocblas_tbsv_kernelILb0ELi512EPKPK19rocblas_complex_numIfEPKPS1_Ev18rocblas_operation_bbiiT1_lllT2_lll,@function
_ZL19rocblas_tbsv_kernelILb0ELi512EPKPK19rocblas_complex_numIfEPKPS1_Ev18rocblas_operation_bbiiT1_lllT2_lll: ; @_ZL19rocblas_tbsv_kernelILb0ELi512EPKPK19rocblas_complex_numIfEPKPS1_Ev18rocblas_operation_bbiiT1_lllT2_lll
; %bb.0:
	s_load_dwordx2 s[26:27], s[4:5], 0x0
	s_load_dwordx4 s[8:11], s[4:5], 0x4
	s_load_dwordx4 s[12:15], s[4:5], 0x10
	s_load_dwordx2 s[16:17], s[4:5], 0x20
	s_mov_b32 s7, 0
	s_waitcnt lgkmcnt(0)
	s_bitcmp1_b32 s27, 0
	s_cselect_b64 s[0:1], -1, 0
	s_xor_b64 s[24:25], s[0:1], -1
	s_bitcmp1_b32 s8, 8
	s_cselect_b64 s[18:19], -1, 0
	s_lshl_b64 s[22:23], s[6:7], 3
	s_add_u32 s20, s12, s22
	s_addc_u32 s21, s13, s23
	s_load_dwordx2 s[12:13], s[20:21], 0x0
	s_load_dwordx4 s[0:3], s[4:5], 0x30
	s_load_dwordx2 s[6:7], s[4:5], 0x40
	s_lshl_b64 s[20:21], s[14:15], 3
	s_waitcnt lgkmcnt(0)
	s_add_u32 s4, s12, s20
	s_addc_u32 s5, s13, s21
	s_add_u32 s0, s0, s22
	s_addc_u32 s1, s1, s23
	s_load_dwordx2 s[0:1], s[0:1], 0x0
	s_lshl_b64 s[2:3], s[2:3], 3
	s_waitcnt lgkmcnt(0)
	s_add_u32 s8, s0, s2
	s_addc_u32 s33, s1, s3
	s_cmp_gt_i32 s9, 0
	s_cselect_b64 s[22:23], -1, 0
	s_cmpk_lg_i32 s26, 0x6f
	s_mov_b64 s[0:1], -1
	s_cbranch_scc0 .LBB13_83
; %bb.1:
	s_and_b64 vcc, exec, s[24:25]
	s_cbranch_vccz .LBB13_42
; %bb.2:
	s_andn2_b64 vcc, exec, s[22:23]
	s_cbranch_vccnz .LBB13_41
; %bb.3:
	s_ashr_i32 s1, s9, 31
	s_mov_b32 s0, s9
	s_add_i32 s38, s9, 0xfffffe00
	s_add_i32 s11, s9, -1
	s_lshl_b64 s[0:1], s[0:1], 3
	s_add_u32 s0, s20, s0
	s_addc_u32 s1, s21, s1
	s_add_u32 s0, s12, s0
	v_mov_b32_e32 v1, 0x3000
	s_addc_u32 s1, s13, s1
	v_lshl_or_b32 v9, v0, 3, v1
	s_add_u32 s26, s0, 0xfffff000
	v_add_u32_e32 v1, s9, v0
	v_sub_u32_e32 v10, 0, v0
	s_addc_u32 s27, s1, -1
	v_add_u32_e32 v11, 0xfffffc00, v1
	s_lshl_b64 s[28:29], s[16:17], 3
	v_mov_b32_e32 v12, s5
	s_xor_b64 s[30:31], s[18:19], -1
	v_mov_b32_e32 v2, 0
	s_mov_b32 s44, s9
	s_branch .LBB13_5
.LBB13_4:                               ;   in Loop: Header=BB13_5 Depth=1
	s_or_b64 exec, exec, s[34:35]
	s_addk_i32 s11, 0xfe00
	s_addk_i32 s44, 0xfe00
	s_add_u32 s26, s26, 0xfffff000
	s_addc_u32 s27, s27, -1
	v_add_u32_e32 v11, 0xfffffe00, v11
	s_andn2_b64 vcc, exec, s[2:3]
	s_mov_b32 s38, s45
	s_waitcnt vmcnt(0) lgkmcnt(0)
	s_barrier
	s_cbranch_vccz .LBB13_41
.LBB13_5:                               ; =>This Loop Header: Depth=1
                                        ;     Child Loop BB13_10 Depth 2
                                        ;     Child Loop BB13_23 Depth 2
                                        ;       Child Loop BB13_26 Depth 3
	v_add_u32_e32 v13, s38, v0
	v_cmp_gt_i32_e32 vcc, 0, v13
	v_cmp_lt_i32_e64 s[0:1], -1, v13
	s_and_saveexec_b64 s[34:35], s[0:1]
	s_cbranch_execz .LBB13_7
; %bb.6:                                ;   in Loop: Header=BB13_5 Depth=1
	v_mad_u64_u32 v[3:4], s[2:3], s6, v13, 0
	v_mov_b32_e32 v1, v4
	v_mad_u64_u32 v[4:5], s[2:3], s7, v13, v[1:2]
	v_mov_b32_e32 v1, s33
	v_lshlrev_b64 v[3:4], 3, v[3:4]
	v_add_co_u32_e64 v3, s[2:3], s8, v3
	v_addc_co_u32_e64 v4, s[2:3], v1, v4, s[2:3]
	flat_load_dwordx2 v[3:4], v[3:4]
	s_waitcnt vmcnt(0) lgkmcnt(0)
	ds_write_b64 v9, v[3:4]
.LBB13_7:                               ;   in Loop: Header=BB13_5 Depth=1
	s_or_b64 exec, exec, s[34:35]
	v_ashrrev_i32_e32 v1, 31, v13
	v_mul_lo_u32 v5, s17, v13
	v_mul_lo_u32 v1, s16, v1
	v_mad_u64_u32 v[3:4], s[2:3], s16, v13, 0
	v_add_u32_e32 v14, s10, v13
	s_movk_i32 s39, 0x1ff
	v_add3_u32 v4, v4, v1, v5
	v_lshlrev_b64 v[3:4], 3, v[3:4]
	s_movk_i32 s40, 0x3ff8
	v_add_co_u32_e64 v15, s[2:3], s4, v3
	v_addc_co_u32_e64 v16, s[2:3], v12, v4, s[2:3]
	s_xor_b64 s[34:35], vcc, -1
	s_waitcnt lgkmcnt(0)
	s_barrier
	s_branch .LBB13_10
.LBB13_8:                               ;   in Loop: Header=BB13_10 Depth=2
	s_or_b64 exec, exec, s[2:3]
	s_add_i32 s39, s39, -1
	s_add_i32 s40, s40, -8
	s_cmp_eq_u32 s39, -1
	s_cselect_b64 s[2:3], -1, 0
.LBB13_9:                               ;   in Loop: Header=BB13_10 Depth=2
	s_and_b64 vcc, exec, s[2:3]
	s_cbranch_vccnz .LBB13_19
.LBB13_10:                              ;   Parent Loop BB13_5 Depth=1
                                        ; =>  This Inner Loop Header: Depth=2
	s_add_i32 s41, s11, s39
	s_addk_i32 s41, 0xfe01
	s_cmp_lt_i32 s41, 0
	s_mov_b64 s[2:3], -1
	s_cbranch_scc1 .LBB13_9
; %bb.11:                               ;   in Loop: Header=BB13_10 Depth=2
	v_add_u32_e32 v1, s39, v10
	v_cmp_eq_u32_e32 vcc, 0, v1
	s_and_b64 s[36:37], s[30:31], vcc
	s_and_saveexec_b64 s[2:3], s[36:37]
	s_cbranch_execz .LBB13_17
; %bb.12:                               ;   in Loop: Header=BB13_10 Depth=2
	s_mul_i32 s36, s17, s41
	s_mul_hi_u32 s37, s16, s41
	s_add_i32 s37, s37, s36
	s_mul_i32 s36, s16, s41
	s_lshl_b64 s[36:37], s[36:37], 3
	s_add_u32 s36, s4, s36
	s_addc_u32 s37, s5, s37
	v_mov_b32_e32 v3, s36
	v_mov_b32_e32 v4, s37
	flat_load_dwordx2 v[3:4], v[3:4]
	ds_read_b64 v[5:6], v9
                                        ; implicit-def: $vgpr7
	s_waitcnt vmcnt(0) lgkmcnt(0)
	v_cmp_ngt_f32_e64 s[36:37], |v3|, |v4|
	s_and_saveexec_b64 s[42:43], s[36:37]
	s_xor_b64 s[36:37], exec, s[42:43]
	s_cbranch_execz .LBB13_14
; %bb.13:                               ;   in Loop: Header=BB13_10 Depth=2
	v_div_scale_f32 v7, s[42:43], v4, v4, v3
	v_div_scale_f32 v8, vcc, v3, v4, v3
	v_rcp_f32_e32 v17, v7
	v_fma_f32 v18, -v7, v17, 1.0
	v_fmac_f32_e32 v17, v18, v17
	v_mul_f32_e32 v18, v8, v17
	v_fma_f32 v19, -v7, v18, v8
	v_fmac_f32_e32 v18, v19, v17
	v_fma_f32 v7, -v7, v18, v8
	v_div_fmas_f32 v7, v7, v17, v18
	v_div_fixup_f32 v7, v7, v4, v3
	v_fmac_f32_e32 v4, v3, v7
	v_div_scale_f32 v3, s[42:43], v4, v4, 1.0
	v_div_scale_f32 v8, vcc, 1.0, v4, 1.0
	v_rcp_f32_e32 v17, v3
	v_fma_f32 v18, -v3, v17, 1.0
	v_fmac_f32_e32 v17, v18, v17
	v_mul_f32_e32 v18, v8, v17
	v_fma_f32 v19, -v3, v18, v8
	v_fmac_f32_e32 v18, v19, v17
	v_fma_f32 v3, -v3, v18, v8
	v_div_fmas_f32 v3, v3, v17, v18
	v_fma_f32 v8, v7, v5, v6
	v_fma_f32 v5, v7, v6, -v5
	v_div_fixup_f32 v3, v3, v4, 1.0
	v_mul_f32_e32 v7, v3, v8
	v_mul_f32_e32 v8, v3, v5
                                        ; implicit-def: $vgpr3_vgpr4
                                        ; implicit-def: $vgpr5_vgpr6
.LBB13_14:                              ;   in Loop: Header=BB13_10 Depth=2
	s_andn2_saveexec_b64 s[36:37], s[36:37]
	s_cbranch_execz .LBB13_16
; %bb.15:                               ;   in Loop: Header=BB13_10 Depth=2
	v_div_scale_f32 v7, s[42:43], v3, v3, v4
	v_div_scale_f32 v8, vcc, v4, v3, v4
	v_rcp_f32_e32 v17, v7
	v_fma_f32 v18, -v7, v17, 1.0
	v_fmac_f32_e32 v17, v18, v17
	v_mul_f32_e32 v18, v8, v17
	v_fma_f32 v19, -v7, v18, v8
	v_fmac_f32_e32 v18, v19, v17
	v_fma_f32 v7, -v7, v18, v8
	v_div_fmas_f32 v7, v7, v17, v18
	v_div_fixup_f32 v7, v7, v3, v4
	v_fmac_f32_e32 v3, v4, v7
	v_div_scale_f32 v4, s[42:43], v3, v3, 1.0
	v_div_scale_f32 v8, vcc, 1.0, v3, 1.0
	v_rcp_f32_e32 v17, v4
	v_fma_f32 v18, -v4, v17, 1.0
	v_fmac_f32_e32 v17, v18, v17
	v_mul_f32_e32 v18, v8, v17
	v_fma_f32 v19, -v4, v18, v8
	v_fmac_f32_e32 v18, v19, v17
	v_fma_f32 v4, -v4, v18, v8
	v_div_fmas_f32 v4, v4, v17, v18
	v_fma_f32 v8, v7, v6, v5
	v_fma_f32 v5, -v7, v5, v6
	v_div_fixup_f32 v3, v4, v3, 1.0
	v_mul_f32_e32 v7, v3, v8
	v_mul_f32_e32 v8, v3, v5
.LBB13_16:                              ;   in Loop: Header=BB13_10 Depth=2
	s_or_b64 exec, exec, s[36:37]
	ds_write_b64 v9, v[7:8]
.LBB13_17:                              ;   in Loop: Header=BB13_10 Depth=2
	s_or_b64 exec, exec, s[2:3]
	v_cmp_gt_u32_e32 vcc, s39, v0
	v_cmp_le_i32_e64 s[2:3], s41, v14
	s_and_b64 s[36:37], s[34:35], vcc
	s_and_b64 s[36:37], s[36:37], s[2:3]
	s_waitcnt lgkmcnt(0)
	s_barrier
	s_and_saveexec_b64 s[2:3], s[36:37]
	s_cbranch_execz .LBB13_8
; %bb.18:                               ;   in Loop: Header=BB13_10 Depth=2
	v_lshlrev_b64 v[3:4], 3, v[1:2]
	v_mov_b32_e32 v1, s40
	v_add_co_u32_e32 v3, vcc, v15, v3
	v_addc_co_u32_e32 v4, vcc, v16, v4, vcc
	flat_load_dwordx2 v[3:4], v[3:4]
	ds_read_b64 v[5:6], v1
	ds_read_b64 v[7:8], v9
	s_waitcnt vmcnt(0) lgkmcnt(0)
	v_mul_f32_e32 v1, v6, v4
	v_mul_f32_e32 v4, v5, v4
	v_fma_f32 v1, v5, v3, -v1
	v_fmac_f32_e32 v4, v6, v3
	v_sub_f32_e32 v3, v7, v1
	v_sub_f32_e32 v4, v8, v4
	ds_write_b64 v9, v[3:4]
	s_branch .LBB13_8
.LBB13_19:                              ;   in Loop: Header=BB13_5 Depth=1
	s_add_i32 s45, s38, 0xfffffe00
	s_cmp_lt_i32 s38, 1
	s_cselect_b64 s[2:3], -1, 0
	s_and_b64 vcc, exec, s[2:3]
	s_waitcnt lgkmcnt(0)
	s_barrier
	s_cbranch_vccnz .LBB13_39
; %bb.20:                               ;   in Loop: Header=BB13_5 Depth=1
	v_mad_i64_i32 v[3:4], s[34:35], v11, -8, s[26:27]
	s_mov_b64 s[34:35], 0
	v_mov_b32_e32 v1, v11
	v_mov_b32_e32 v7, v0
	s_mov_b32 s46, s45
                                        ; implicit-def: $sgpr36_sgpr37
	s_branch .LBB13_23
.LBB13_21:                              ;   in Loop: Header=BB13_23 Depth=2
	v_mad_u64_u32 v[5:6], s[40:41], s6, v14, 0
	s_add_i32 s42, s46, 0xfffffe00
	s_cmp_lt_i32 s46, 1
	v_mad_u64_u32 v[16:17], s[40:41], s7, v14, v[6:7]
	v_mov_b32_e32 v14, s33
	s_cselect_b64 s[40:41], -1, 0
	v_mov_b32_e32 v6, v16
	v_lshlrev_b64 v[5:6], 3, v[5:6]
	s_andn2_b64 s[36:37], s[36:37], exec
	v_add_co_u32_e32 v5, vcc, s8, v5
	v_addc_co_u32_e32 v6, vcc, v14, v6, vcc
	flat_load_dwordx2 v[16:17], v[5:6]
	v_add_co_u32_e32 v3, vcc, 0x1000, v3
	s_and_b64 s[40:41], s[40:41], exec
	v_add_u32_e32 v1, 0xfffffe00, v1
	v_addc_co_u32_e32 v4, vcc, 0, v4, vcc
	s_or_b64 s[36:37], s[36:37], s[40:41]
	s_mov_b32 s46, s42
	s_waitcnt vmcnt(0) lgkmcnt(0)
	v_sub_f32_e32 v14, v16, v15
	v_sub_f32_e32 v15, v17, v8
	flat_store_dwordx2 v[5:6], v[14:15]
.LBB13_22:                              ;   in Loop: Header=BB13_23 Depth=2
	s_or_b64 exec, exec, s[38:39]
	s_and_b64 s[38:39], exec, s[36:37]
	s_or_b64 s[34:35], s[38:39], s[34:35]
	s_andn2_b64 exec, exec, s[34:35]
	s_cbranch_execz .LBB13_38
.LBB13_23:                              ;   Parent Loop BB13_5 Depth=1
                                        ; =>  This Loop Header: Depth=2
                                        ;       Child Loop BB13_26 Depth 3
	v_add_u32_e32 v14, s46, v0
	v_cmp_lt_i32_e32 vcc, -1, v14
	s_or_b64 s[36:37], s[36:37], exec
	s_and_saveexec_b64 s[38:39], vcc
	s_cbranch_execz .LBB13_22
; %bb.24:                               ;   in Loop: Header=BB13_23 Depth=2
	v_mad_u64_u32 v[5:6], s[40:41], s28, v1, v[3:4]
	v_add_u32_e32 v16, s10, v14
	v_add_u32_e32 v17, 0xfffffdff, v7
	v_mad_u64_u32 v[18:19], s[40:41], s29, v1, v[6:7]
	v_add_u32_e32 v7, 0xfffffe00, v7
	v_mov_b32_e32 v8, 0
	v_mov_b32_e32 v6, v18
	s_mov_b32 s47, 0
	s_movk_i32 s48, 0x3000
	v_mov_b32_e32 v15, 0
	s_branch .LBB13_26
.LBB13_25:                              ;   in Loop: Header=BB13_26 Depth=3
	s_or_b64 exec, exec, s[40:41]
	s_add_i32 s47, s47, 2
	s_add_i32 s48, s48, 16
	v_add_co_u32_e32 v5, vcc, 16, v5
	s_cmpk_eq_i32 s47, 0x200
	v_addc_co_u32_e32 v6, vcc, 0, v6, vcc
	s_cbranch_scc1 .LBB13_21
.LBB13_26:                              ;   Parent Loop BB13_5 Depth=1
                                        ;     Parent Loop BB13_23 Depth=2
                                        ; =>    This Inner Loop Header: Depth=3
	v_cmp_ne_u32_e32 vcc, s47, v7
	s_add_i32 s49, s44, s47
	s_or_b64 s[40:41], s[30:31], vcc
	s_and_saveexec_b64 s[42:43], s[40:41]
	s_xor_b64 s[40:41], exec, s[42:43]
	s_cbranch_execz .LBB13_30
; %bb.27:                               ;   in Loop: Header=BB13_26 Depth=3
	s_add_i32 s42, s49, 0xfffffe00
	v_cmp_le_i32_e32 vcc, s42, v16
	s_and_saveexec_b64 s[42:43], vcc
	s_cbranch_execz .LBB13_29
; %bb.28:                               ;   in Loop: Header=BB13_26 Depth=3
	flat_load_dwordx2 v[18:19], v[5:6]
	v_mov_b32_e32 v20, s48
	ds_read_b64 v[20:21], v20
	s_waitcnt vmcnt(0) lgkmcnt(0)
	v_mul_f32_e32 v22, v21, v19
	v_mul_f32_e32 v19, v20, v19
	v_fma_f32 v20, v20, v18, -v22
	v_fmac_f32_e32 v19, v21, v18
	v_add_f32_e32 v15, v15, v20
	v_add_f32_e32 v8, v8, v19
.LBB13_29:                              ;   in Loop: Header=BB13_26 Depth=3
	s_or_b64 exec, exec, s[42:43]
.LBB13_30:                              ;   in Loop: Header=BB13_26 Depth=3
	s_andn2_saveexec_b64 s[40:41], s[40:41]
	s_cbranch_execz .LBB13_32
; %bb.31:                               ;   in Loop: Header=BB13_26 Depth=3
	v_mov_b32_e32 v18, s48
	ds_read_b64 v[18:19], v18
	s_waitcnt lgkmcnt(0)
	v_add_f32_e32 v15, v15, v18
	v_add_f32_e32 v8, v8, v19
.LBB13_32:                              ;   in Loop: Header=BB13_26 Depth=3
	s_or_b64 exec, exec, s[40:41]
	v_cmp_ne_u32_e32 vcc, s47, v17
	s_or_b64 s[40:41], s[30:31], vcc
	s_and_saveexec_b64 s[42:43], s[40:41]
	s_xor_b64 s[40:41], exec, s[42:43]
	s_cbranch_execz .LBB13_36
; %bb.33:                               ;   in Loop: Header=BB13_26 Depth=3
	s_addk_i32 s49, 0xfe01
	v_cmp_le_i32_e32 vcc, s49, v16
	s_and_saveexec_b64 s[42:43], vcc
	s_cbranch_execz .LBB13_35
; %bb.34:                               ;   in Loop: Header=BB13_26 Depth=3
	flat_load_dwordx2 v[18:19], v[5:6] offset:8
	v_mov_b32_e32 v20, s48
	ds_read_b64 v[20:21], v20 offset:8
	s_waitcnt vmcnt(0) lgkmcnt(0)
	v_mul_f32_e32 v22, v21, v19
	v_mul_f32_e32 v19, v20, v19
	v_fma_f32 v20, v20, v18, -v22
	v_fmac_f32_e32 v19, v21, v18
	v_add_f32_e32 v15, v15, v20
	v_add_f32_e32 v8, v8, v19
.LBB13_35:                              ;   in Loop: Header=BB13_26 Depth=3
	s_or_b64 exec, exec, s[42:43]
.LBB13_36:                              ;   in Loop: Header=BB13_26 Depth=3
	s_andn2_saveexec_b64 s[40:41], s[40:41]
	s_cbranch_execz .LBB13_25
; %bb.37:                               ;   in Loop: Header=BB13_26 Depth=3
	v_mov_b32_e32 v18, s48
	ds_read_b64 v[18:19], v18 offset:8
	s_waitcnt lgkmcnt(0)
	v_add_f32_e32 v15, v15, v18
	v_add_f32_e32 v8, v8, v19
	s_branch .LBB13_25
.LBB13_38:                              ;   in Loop: Header=BB13_5 Depth=1
	s_or_b64 exec, exec, s[34:35]
.LBB13_39:                              ;   in Loop: Header=BB13_5 Depth=1
	s_and_saveexec_b64 s[34:35], s[0:1]
	s_cbranch_execz .LBB13_4
; %bb.40:                               ;   in Loop: Header=BB13_5 Depth=1
	v_mad_u64_u32 v[3:4], s[0:1], s6, v13, 0
	v_mov_b32_e32 v1, v4
	v_mad_u64_u32 v[4:5], s[0:1], s7, v13, v[1:2]
	ds_read_b64 v[5:6], v9
	v_mov_b32_e32 v1, s33
	v_lshlrev_b64 v[3:4], 3, v[3:4]
	v_add_co_u32_e32 v3, vcc, s8, v3
	v_addc_co_u32_e32 v4, vcc, v1, v4, vcc
	s_waitcnt lgkmcnt(0)
	flat_store_dwordx2 v[3:4], v[5:6]
	s_branch .LBB13_4
.LBB13_41:
	s_mov_b64 s[0:1], 0
.LBB13_42:
	s_andn2_b64 vcc, exec, s[0:1]
	s_cbranch_vccnz .LBB13_82
; %bb.43:
	s_andn2_b64 vcc, exec, s[22:23]
	s_cbranch_vccnz .LBB13_82
; %bb.44:
	s_lshl_b64 s[26:27], s[16:17], 3
	s_add_u32 s28, s26, -8
	s_addc_u32 s30, s27, -1
	s_ashr_i32 s11, s10, 31
	s_lshl_b64 s[0:1], s[10:11], 3
	s_add_u32 s2, s12, s0
	s_addc_u32 s3, s13, s1
	s_add_u32 s2, s2, s20
	s_addc_u32 s3, s3, s21
	v_mov_b32_e32 v1, s2
	v_mov_b32_e32 v2, s3
	v_mad_u64_u32 v[1:2], s[28:29], s28, v0, v[1:2]
	v_mov_b32_e32 v3, 0x1000
	v_lshl_or_b32 v15, v0, 3, v3
	v_mad_u64_u32 v[2:3], s[28:29], s30, v0, v[2:3]
	v_or_b32_e32 v16, 0x200, v0
	v_mad_u64_u32 v[3:4], s[28:29], s16, v16, 0
	s_lshl_b64 s[28:29], s[16:17], 12
	s_add_u32 s0, s20, s0
	v_mad_u64_u32 v[4:5], s[30:31], s17, v16, v[4:5]
	s_addc_u32 s1, s21, s1
	s_add_u32 s30, s12, s0
	s_addc_u32 s31, s13, s1
	v_lshlrev_b64 v[3:4], 3, v[3:4]
	s_add_u32 s11, s28, 0x1000
	s_addc_u32 s46, s29, 0
	v_mov_b32_e32 v5, s3
	v_add_co_u32_e32 v3, vcc, s2, v3
	s_add_u32 s47, s28, 0xfffff000
	v_addc_co_u32_e32 v4, vcc, v5, v4, vcc
	s_addc_u32 s48, s29, -1
	s_mov_b32 s49, 0
	s_xor_b64 s[34:35], s[18:19], -1
	s_branch .LBB13_46
.LBB13_45:                              ;   in Loop: Header=BB13_46 Depth=1
	s_or_b64 exec, exec, s[36:37]
	v_mov_b32_e32 v5, s29
	v_add_co_u32_e32 v1, vcc, s28, v1
	v_addc_co_u32_e32 v2, vcc, v2, v5, vcc
	v_mov_b32_e32 v5, s46
	v_add_co_u32_e32 v3, vcc, s11, v3
	s_add_u32 s30, s30, s28
	v_addc_co_u32_e32 v4, vcc, v4, v5, vcc
	s_addc_u32 s31, s31, s29
	v_add_u32_e32 v16, 0x200, v16
	s_and_b64 vcc, exec, s[2:3]
	s_mov_b32 s49, s50
	s_waitcnt vmcnt(0) lgkmcnt(0)
	s_barrier
	s_cbranch_vccnz .LBB13_82
.LBB13_46:                              ; =>This Loop Header: Depth=1
                                        ;     Child Loop BB13_51 Depth 2
                                        ;     Child Loop BB13_64 Depth 2
                                        ;       Child Loop BB13_67 Depth 3
	v_add_u32_e32 v17, s49, v0
	v_cmp_le_i32_e32 vcc, s9, v17
	v_cmp_gt_i32_e64 s[0:1], s9, v17
	s_and_saveexec_b64 s[36:37], s[0:1]
	s_cbranch_execz .LBB13_48
; %bb.47:                               ;   in Loop: Header=BB13_46 Depth=1
	v_mad_u64_u32 v[5:6], s[2:3], s6, v17, 0
	v_mad_u64_u32 v[6:7], s[2:3], s7, v17, v[6:7]
	v_mov_b32_e32 v7, s33
	v_lshlrev_b64 v[5:6], 3, v[5:6]
	v_add_co_u32_e64 v5, s[2:3], s8, v5
	v_addc_co_u32_e64 v6, s[2:3], v7, v6, s[2:3]
	flat_load_dwordx2 v[5:6], v[5:6]
	s_waitcnt vmcnt(0) lgkmcnt(0)
	ds_write_b64 v15, v[5:6]
.LBB13_48:                              ;   in Loop: Header=BB13_46 Depth=1
	s_or_b64 exec, exec, s[36:37]
	v_mov_b32_e32 v5, s30
	v_mov_b32_e32 v8, v2
	v_subrev_u32_e32 v18, s10, v17
	s_mov_b32 s40, 0
	s_movk_i32 s41, 0x1000
	v_mov_b32_e32 v6, s31
	s_xor_b64 s[36:37], vcc, -1
	v_mov_b32_e32 v7, v1
	s_waitcnt lgkmcnt(0)
	s_barrier
	s_branch .LBB13_51
.LBB13_49:                              ;   in Loop: Header=BB13_51 Depth=2
	s_or_b64 exec, exec, s[2:3]
	v_add_co_u32_e32 v7, vcc, 8, v7
	s_add_i32 s40, s40, 1
	s_add_i32 s41, s41, 8
	v_addc_co_u32_e32 v8, vcc, 0, v8, vcc
	v_mov_b32_e32 v9, s27
	v_add_co_u32_e32 v5, vcc, s26, v5
	s_cmpk_eq_i32 s40, 0x200
	v_addc_co_u32_e32 v6, vcc, v6, v9, vcc
	s_cselect_b64 s[2:3], -1, 0
.LBB13_50:                              ;   in Loop: Header=BB13_51 Depth=2
	s_and_b64 vcc, exec, s[2:3]
	s_cbranch_vccnz .LBB13_60
.LBB13_51:                              ;   Parent Loop BB13_46 Depth=1
                                        ; =>  This Inner Loop Header: Depth=2
	s_add_i32 s42, s49, s40
	s_cmp_ge_i32 s42, s9
	s_mov_b64 s[2:3], -1
	s_cbranch_scc1 .LBB13_50
; %bb.52:                               ;   in Loop: Header=BB13_51 Depth=2
	v_cmp_eq_u32_e32 vcc, s40, v0
	s_and_b64 s[38:39], s[34:35], vcc
	s_and_saveexec_b64 s[2:3], s[38:39]
	s_cbranch_execz .LBB13_58
; %bb.53:                               ;   in Loop: Header=BB13_51 Depth=2
	flat_load_dwordx2 v[9:10], v[5:6]
	ds_read_b64 v[11:12], v15
                                        ; implicit-def: $vgpr13
	s_waitcnt vmcnt(0) lgkmcnt(0)
	v_cmp_ngt_f32_e64 s[38:39], |v9|, |v10|
	s_and_saveexec_b64 s[44:45], s[38:39]
	s_xor_b64 s[38:39], exec, s[44:45]
	s_cbranch_execz .LBB13_55
; %bb.54:                               ;   in Loop: Header=BB13_51 Depth=2
	v_div_scale_f32 v13, s[44:45], v10, v10, v9
	v_div_scale_f32 v14, vcc, v9, v10, v9
	v_rcp_f32_e32 v19, v13
	v_fma_f32 v20, -v13, v19, 1.0
	v_fmac_f32_e32 v19, v20, v19
	v_mul_f32_e32 v20, v14, v19
	v_fma_f32 v21, -v13, v20, v14
	v_fmac_f32_e32 v20, v21, v19
	v_fma_f32 v13, -v13, v20, v14
	v_div_fmas_f32 v13, v13, v19, v20
	v_div_fixup_f32 v13, v13, v10, v9
	v_fmac_f32_e32 v10, v9, v13
	v_div_scale_f32 v9, s[44:45], v10, v10, 1.0
	v_div_scale_f32 v14, vcc, 1.0, v10, 1.0
	v_rcp_f32_e32 v19, v9
	v_fma_f32 v20, -v9, v19, 1.0
	v_fmac_f32_e32 v19, v20, v19
	v_mul_f32_e32 v20, v14, v19
	v_fma_f32 v21, -v9, v20, v14
	v_fmac_f32_e32 v20, v21, v19
	v_fma_f32 v9, -v9, v20, v14
	v_div_fmas_f32 v9, v9, v19, v20
	v_fma_f32 v14, v13, v11, v12
	v_fma_f32 v11, v13, v12, -v11
	v_div_fixup_f32 v9, v9, v10, 1.0
	v_mul_f32_e32 v13, v9, v14
	v_mul_f32_e32 v14, v9, v11
                                        ; implicit-def: $vgpr9_vgpr10
                                        ; implicit-def: $vgpr11_vgpr12
.LBB13_55:                              ;   in Loop: Header=BB13_51 Depth=2
	s_andn2_saveexec_b64 s[38:39], s[38:39]
	s_cbranch_execz .LBB13_57
; %bb.56:                               ;   in Loop: Header=BB13_51 Depth=2
	v_div_scale_f32 v13, s[44:45], v9, v9, v10
	v_div_scale_f32 v14, vcc, v10, v9, v10
	v_rcp_f32_e32 v19, v13
	v_fma_f32 v20, -v13, v19, 1.0
	v_fmac_f32_e32 v19, v20, v19
	v_mul_f32_e32 v20, v14, v19
	v_fma_f32 v21, -v13, v20, v14
	v_fmac_f32_e32 v20, v21, v19
	v_fma_f32 v13, -v13, v20, v14
	v_div_fmas_f32 v13, v13, v19, v20
	v_div_fixup_f32 v13, v13, v9, v10
	v_fmac_f32_e32 v9, v10, v13
	v_div_scale_f32 v10, s[44:45], v9, v9, 1.0
	v_div_scale_f32 v14, vcc, 1.0, v9, 1.0
	v_rcp_f32_e32 v19, v10
	v_fma_f32 v20, -v10, v19, 1.0
	v_fmac_f32_e32 v19, v20, v19
	v_mul_f32_e32 v20, v14, v19
	v_fma_f32 v21, -v10, v20, v14
	v_fmac_f32_e32 v20, v21, v19
	v_fma_f32 v10, -v10, v20, v14
	v_div_fmas_f32 v10, v10, v19, v20
	v_fma_f32 v14, v13, v12, v11
	v_fma_f32 v11, -v13, v11, v12
	v_div_fixup_f32 v9, v10, v9, 1.0
	v_mul_f32_e32 v13, v9, v14
	v_mul_f32_e32 v14, v9, v11
.LBB13_57:                              ;   in Loop: Header=BB13_51 Depth=2
	s_or_b64 exec, exec, s[38:39]
	ds_write_b64 v15, v[13:14]
.LBB13_58:                              ;   in Loop: Header=BB13_51 Depth=2
	s_or_b64 exec, exec, s[2:3]
	v_cmp_lt_u32_e32 vcc, s40, v0
	v_cmp_ge_i32_e64 s[2:3], s42, v18
	s_and_b64 s[38:39], s[36:37], vcc
	s_and_b64 s[38:39], s[38:39], s[2:3]
	s_waitcnt lgkmcnt(0)
	s_barrier
	s_and_saveexec_b64 s[2:3], s[38:39]
	s_cbranch_execz .LBB13_49
; %bb.59:                               ;   in Loop: Header=BB13_51 Depth=2
	flat_load_dwordx2 v[9:10], v[7:8]
	v_mov_b32_e32 v11, s41
	ds_read_b64 v[11:12], v11
	ds_read_b64 v[13:14], v15
	s_waitcnt vmcnt(0) lgkmcnt(0)
	v_mul_f32_e32 v19, v12, v10
	v_mul_f32_e32 v10, v11, v10
	v_fma_f32 v11, v11, v9, -v19
	v_fmac_f32_e32 v10, v12, v9
	v_sub_f32_e32 v9, v13, v11
	v_sub_f32_e32 v10, v14, v10
	ds_write_b64 v15, v[9:10]
	s_branch .LBB13_49
.LBB13_60:                              ;   in Loop: Header=BB13_46 Depth=1
	s_add_i32 s50, s49, 0x200
	s_cmp_ge_i32 s50, s9
	s_cselect_b64 s[2:3], -1, 0
	s_and_b64 vcc, exec, s[2:3]
	s_waitcnt lgkmcnt(0)
	s_barrier
	s_cbranch_vccnz .LBB13_80
; %bb.61:                               ;   in Loop: Header=BB13_46 Depth=1
	v_mad_i64_i32 v[5:6], s[36:37], v16, -8, v[3:4]
	s_mov_b64 s[36:37], 0
	v_mov_b32_e32 v9, v0
	s_mov_b32 s51, s50
                                        ; implicit-def: $sgpr38_sgpr39
	s_branch .LBB13_64
.LBB13_62:                              ;   in Loop: Header=BB13_64 Depth=2
	v_mad_u64_u32 v[7:8], s[42:43], s6, v12, 0
	s_addk_i32 s51, 0x200
	s_cmp_ge_i32 s51, s9
	v_mad_u64_u32 v[12:13], s[42:43], s7, v12, v[8:9]
	v_mov_b32_e32 v13, s33
	s_cselect_b64 s[42:43], -1, 0
	v_mov_b32_e32 v8, v12
	v_lshlrev_b64 v[7:8], 3, v[7:8]
	v_mov_b32_e32 v14, s48
	v_add_co_u32_e32 v7, vcc, s8, v7
	v_addc_co_u32_e32 v8, vcc, v13, v8, vcc
	flat_load_dwordx2 v[12:13], v[7:8]
	v_add_co_u32_e32 v5, vcc, s47, v5
	s_andn2_b64 s[38:39], s[38:39], exec
	s_and_b64 s[42:43], s[42:43], exec
	v_addc_co_u32_e32 v6, vcc, v6, v14, vcc
	s_or_b64 s[38:39], s[38:39], s[42:43]
	s_waitcnt vmcnt(0) lgkmcnt(0)
	v_sub_f32_e32 v11, v12, v11
	v_sub_f32_e32 v12, v13, v10
	flat_store_dwordx2 v[7:8], v[11:12]
.LBB13_63:                              ;   in Loop: Header=BB13_64 Depth=2
	s_or_b64 exec, exec, s[40:41]
	s_and_b64 s[40:41], exec, s[38:39]
	s_or_b64 s[36:37], s[40:41], s[36:37]
	s_andn2_b64 exec, exec, s[36:37]
	s_cbranch_execz .LBB13_79
.LBB13_64:                              ;   Parent Loop BB13_46 Depth=1
                                        ; =>  This Loop Header: Depth=2
                                        ;       Child Loop BB13_67 Depth 3
	v_add_u32_e32 v12, s51, v0
	v_cmp_gt_i32_e32 vcc, s9, v12
	s_or_b64 s[38:39], s[38:39], exec
	s_and_saveexec_b64 s[40:41], vcc
	s_cbranch_execz .LBB13_63
; %bb.65:                               ;   in Loop: Header=BB13_64 Depth=2
	v_mov_b32_e32 v8, v6
	v_subrev_u32_e32 v13, s10, v12
	v_add_u32_e32 v14, 0x1ff, v9
	v_add_u32_e32 v9, 0x200, v9
	v_mov_b32_e32 v10, 0
	s_mov_b32 s52, 0
	s_movk_i32 s53, 0x1000
	v_mov_b32_e32 v7, v5
	v_mov_b32_e32 v11, 0
	s_branch .LBB13_67
.LBB13_66:                              ;   in Loop: Header=BB13_67 Depth=3
	s_or_b64 exec, exec, s[42:43]
	s_add_i32 s52, s52, 2
	s_add_i32 s53, s53, 16
	v_add_co_u32_e32 v7, vcc, 16, v7
	s_cmpk_eq_i32 s52, 0x200
	v_addc_co_u32_e32 v8, vcc, 0, v8, vcc
	s_cbranch_scc1 .LBB13_62
.LBB13_67:                              ;   Parent Loop BB13_46 Depth=1
                                        ;     Parent Loop BB13_64 Depth=2
                                        ; =>    This Inner Loop Header: Depth=3
	v_cmp_ne_u32_e32 vcc, s52, v9
	s_add_i32 s54, s49, s52
	s_or_b64 s[42:43], s[34:35], vcc
	s_and_saveexec_b64 s[44:45], s[42:43]
	s_xor_b64 s[42:43], exec, s[44:45]
	s_cbranch_execz .LBB13_71
; %bb.68:                               ;   in Loop: Header=BB13_67 Depth=3
	s_cmp_lt_i32 s54, s9
	s_cselect_b64 s[44:45], -1, 0
	v_cmp_ge_i32_e32 vcc, s54, v13
	s_and_b64 s[56:57], s[44:45], vcc
	s_and_saveexec_b64 s[44:45], s[56:57]
	s_cbranch_execz .LBB13_70
; %bb.69:                               ;   in Loop: Header=BB13_67 Depth=3
	flat_load_dwordx2 v[18:19], v[7:8]
	v_mov_b32_e32 v20, s53
	ds_read_b64 v[20:21], v20
	s_waitcnt vmcnt(0) lgkmcnt(0)
	v_mul_f32_e32 v22, v21, v19
	v_mul_f32_e32 v19, v20, v19
	v_fma_f32 v20, v20, v18, -v22
	v_fmac_f32_e32 v19, v21, v18
	v_add_f32_e32 v11, v11, v20
	v_add_f32_e32 v10, v10, v19
.LBB13_70:                              ;   in Loop: Header=BB13_67 Depth=3
	s_or_b64 exec, exec, s[44:45]
.LBB13_71:                              ;   in Loop: Header=BB13_67 Depth=3
	s_andn2_saveexec_b64 s[42:43], s[42:43]
	s_cbranch_execz .LBB13_73
; %bb.72:                               ;   in Loop: Header=BB13_67 Depth=3
	v_mov_b32_e32 v18, s53
	ds_read_b64 v[18:19], v18
	s_waitcnt lgkmcnt(0)
	v_add_f32_e32 v11, v11, v18
	v_add_f32_e32 v10, v10, v19
.LBB13_73:                              ;   in Loop: Header=BB13_67 Depth=3
	s_or_b64 exec, exec, s[42:43]
	v_cmp_ne_u32_e32 vcc, s52, v14
	s_or_b64 s[42:43], s[34:35], vcc
	s_and_saveexec_b64 s[44:45], s[42:43]
	s_xor_b64 s[42:43], exec, s[44:45]
	s_cbranch_execz .LBB13_77
; %bb.74:                               ;   in Loop: Header=BB13_67 Depth=3
	s_add_i32 s54, s54, 1
	s_cmp_lt_i32 s54, s9
	s_cselect_b64 s[44:45], -1, 0
	v_cmp_ge_i32_e32 vcc, s54, v13
	s_and_b64 s[54:55], s[44:45], vcc
	s_and_saveexec_b64 s[44:45], s[54:55]
	s_cbranch_execz .LBB13_76
; %bb.75:                               ;   in Loop: Header=BB13_67 Depth=3
	flat_load_dwordx2 v[18:19], v[7:8] offset:8
	v_mov_b32_e32 v20, s53
	ds_read_b64 v[20:21], v20 offset:8
	s_waitcnt vmcnt(0) lgkmcnt(0)
	v_mul_f32_e32 v22, v21, v19
	v_mul_f32_e32 v19, v20, v19
	v_fma_f32 v20, v20, v18, -v22
	v_fmac_f32_e32 v19, v21, v18
	v_add_f32_e32 v11, v11, v20
	v_add_f32_e32 v10, v10, v19
.LBB13_76:                              ;   in Loop: Header=BB13_67 Depth=3
	s_or_b64 exec, exec, s[44:45]
.LBB13_77:                              ;   in Loop: Header=BB13_67 Depth=3
	s_andn2_saveexec_b64 s[42:43], s[42:43]
	s_cbranch_execz .LBB13_66
; %bb.78:                               ;   in Loop: Header=BB13_67 Depth=3
	v_mov_b32_e32 v18, s53
	ds_read_b64 v[18:19], v18 offset:8
	s_waitcnt lgkmcnt(0)
	v_add_f32_e32 v11, v11, v18
	v_add_f32_e32 v10, v10, v19
	s_branch .LBB13_66
.LBB13_79:                              ;   in Loop: Header=BB13_46 Depth=1
	s_or_b64 exec, exec, s[36:37]
.LBB13_80:                              ;   in Loop: Header=BB13_46 Depth=1
	s_and_saveexec_b64 s[36:37], s[0:1]
	s_cbranch_execz .LBB13_45
; %bb.81:                               ;   in Loop: Header=BB13_46 Depth=1
	v_mad_u64_u32 v[5:6], s[0:1], s6, v17, 0
	v_mov_b32_e32 v9, s33
	v_mad_u64_u32 v[6:7], s[0:1], s7, v17, v[6:7]
	ds_read_b64 v[7:8], v15
	v_lshlrev_b64 v[5:6], 3, v[5:6]
	v_add_co_u32_e32 v5, vcc, s8, v5
	v_addc_co_u32_e32 v6, vcc, v9, v6, vcc
	s_waitcnt lgkmcnt(0)
	flat_store_dwordx2 v[5:6], v[7:8]
	s_branch .LBB13_45
.LBB13_82:
	s_mov_b64 s[0:1], 0
.LBB13_83:
	s_andn2_b64 vcc, exec, s[0:1]
	s_cbranch_vccnz .LBB13_165
; %bb.84:
	s_mov_b64 s[0:1], -1
	s_and_b64 vcc, exec, s[24:25]
	s_cbranch_vccz .LBB13_125
; %bb.85:
	s_andn2_b64 vcc, exec, s[22:23]
	s_cbranch_vccnz .LBB13_124
; %bb.86:
	s_lshl_b64 s[24:25], s[16:17], 12
	s_lshl_b64 s[26:27], s[16:17], 3
	s_add_u32 s28, s12, s26
	s_addc_u32 s29, s13, s27
	s_lshl_b64 s[0:1], s[16:17], 4
	s_add_u32 s11, s0, -16
	v_lshlrev_b32_e32 v9, 3, v0
	v_or_b32_e32 v10, 0x200, v0
	s_addc_u32 s58, s1, -1
	s_mov_b32 s59, 0
	s_mov_b64 s[30:31], -1
	s_mov_b64 s[34:35], 0
	s_xor_b64 s[36:37], s[18:19], -1
	v_mov_b32_e32 v2, 0
	s_mov_b64 s[38:39], 0
	s_mov_b64 s[40:41], s[4:5]
	s_branch .LBB13_88
.LBB13_87:                              ;   in Loop: Header=BB13_88 Depth=1
	s_or_b64 exec, exec, s[42:43]
	s_add_u32 s40, s40, s24
	s_addc_u32 s41, s41, s25
	s_add_u32 s30, s30, 0xfffffe00
	s_addc_u32 s31, s31, -1
	s_add_u32 s38, s38, s24
	s_addc_u32 s39, s39, s25
	s_add_u32 s34, s34, 0xfffffe00
	v_add_u32_e32 v10, 0x200, v10
	s_addc_u32 s35, s35, -1
	s_and_b64 vcc, exec, s[2:3]
	s_mov_b32 s59, s60
	s_waitcnt vmcnt(0) lgkmcnt(0)
	s_barrier
	s_cbranch_vccnz .LBB13_124
.LBB13_88:                              ; =>This Loop Header: Depth=1
                                        ;     Child Loop BB13_92 Depth 2
                                        ;     Child Loop BB13_106 Depth 2
                                        ;       Child Loop BB13_109 Depth 3
	v_add_u32_e32 v11, s59, v0
	v_cmp_le_i32_e32 vcc, s9, v11
	v_cmp_gt_i32_e64 s[0:1], s9, v11
	s_and_saveexec_b64 s[42:43], s[0:1]
	s_cbranch_execz .LBB13_90
; %bb.89:                               ;   in Loop: Header=BB13_88 Depth=1
	v_mad_u64_u32 v[3:4], s[2:3], s6, v11, 0
	v_mov_b32_e32 v1, v4
	v_mad_u64_u32 v[4:5], s[2:3], s7, v11, v[1:2]
	v_mov_b32_e32 v1, s33
	v_lshlrev_b64 v[3:4], 3, v[3:4]
	v_add_co_u32_e64 v3, s[2:3], s8, v3
	v_addc_co_u32_e64 v4, s[2:3], v1, v4, s[2:3]
	flat_load_dwordx2 v[3:4], v[3:4]
	s_waitcnt vmcnt(0) lgkmcnt(0)
	ds_write_b64 v9, v[3:4]
.LBB13_90:                              ;   in Loop: Header=BB13_88 Depth=1
	s_or_b64 exec, exec, s[42:43]
	v_subrev_u32_e32 v12, s10, v11
	s_mov_b32 s48, 0
	s_xor_b64 s[42:43], vcc, -1
	s_mov_b64 s[44:45], s[40:41]
	v_mov_b32_e32 v1, v0
	s_mov_b32 s49, 0
	s_waitcnt lgkmcnt(0)
	s_barrier
	s_branch .LBB13_92
.LBB13_91:                              ;   in Loop: Header=BB13_92 Depth=2
                                        ; implicit-def: $sgpr49
                                        ; implicit-def: $sgpr48
                                        ; implicit-def: $sgpr44_sgpr45
	s_cbranch_execnz .LBB13_102
.LBB13_92:                              ;   Parent Loop BB13_88 Depth=1
                                        ; =>  This Inner Loop Header: Depth=2
	s_add_i32 s50, s59, s49
	s_cmp_ge_i32 s50, s9
	s_cbranch_scc1 .LBB13_91
; %bb.93:                               ;   in Loop: Header=BB13_92 Depth=2
	v_cmp_eq_u32_e32 vcc, s49, v0
	s_and_b64 s[46:47], s[36:37], vcc
	s_and_saveexec_b64 s[2:3], s[46:47]
	s_cbranch_execz .LBB13_99
; %bb.94:                               ;   in Loop: Header=BB13_92 Depth=2
	v_mov_b32_e32 v3, s44
	v_mov_b32_e32 v4, s45
	flat_load_dwordx2 v[3:4], v[3:4]
	ds_read_b64 v[5:6], v9
                                        ; implicit-def: $vgpr7
	s_waitcnt vmcnt(0) lgkmcnt(0)
	v_cmp_ngt_f32_e64 s[46:47], |v3|, |v4|
	s_and_saveexec_b64 s[52:53], s[46:47]
	s_xor_b64 s[46:47], exec, s[52:53]
	s_cbranch_execz .LBB13_96
; %bb.95:                               ;   in Loop: Header=BB13_92 Depth=2
	v_div_scale_f32 v7, s[52:53], v4, v4, v3
	v_div_scale_f32 v8, vcc, v3, v4, v3
	v_rcp_f32_e32 v13, v7
	v_fma_f32 v14, -v7, v13, 1.0
	v_fmac_f32_e32 v13, v14, v13
	v_mul_f32_e32 v14, v8, v13
	v_fma_f32 v15, -v7, v14, v8
	v_fmac_f32_e32 v14, v15, v13
	v_fma_f32 v7, -v7, v14, v8
	v_div_fmas_f32 v7, v7, v13, v14
	v_div_fixup_f32 v7, v7, v4, v3
	v_fmac_f32_e32 v4, v3, v7
	v_div_scale_f32 v3, s[52:53], v4, v4, 1.0
	v_div_scale_f32 v8, vcc, 1.0, v4, 1.0
	v_rcp_f32_e32 v13, v3
	v_fma_f32 v14, -v3, v13, 1.0
	v_fmac_f32_e32 v13, v14, v13
	v_mul_f32_e32 v14, v8, v13
	v_fma_f32 v15, -v3, v14, v8
	v_fmac_f32_e32 v14, v15, v13
	v_fma_f32 v3, -v3, v14, v8
	v_div_fmas_f32 v3, v3, v13, v14
	v_fma_f32 v8, v7, v5, v6
	v_fma_f32 v5, v7, v6, -v5
	v_div_fixup_f32 v3, v3, v4, 1.0
	v_mul_f32_e32 v7, v3, v8
	v_mul_f32_e32 v8, v3, v5
                                        ; implicit-def: $vgpr3_vgpr4
                                        ; implicit-def: $vgpr5_vgpr6
.LBB13_96:                              ;   in Loop: Header=BB13_92 Depth=2
	s_andn2_saveexec_b64 s[46:47], s[46:47]
	s_cbranch_execz .LBB13_98
; %bb.97:                               ;   in Loop: Header=BB13_92 Depth=2
	v_div_scale_f32 v7, s[52:53], v3, v3, v4
	v_div_scale_f32 v8, vcc, v4, v3, v4
	v_rcp_f32_e32 v13, v7
	v_fma_f32 v14, -v7, v13, 1.0
	v_fmac_f32_e32 v13, v14, v13
	v_mul_f32_e32 v14, v8, v13
	v_fma_f32 v15, -v7, v14, v8
	v_fmac_f32_e32 v14, v15, v13
	v_fma_f32 v7, -v7, v14, v8
	v_div_fmas_f32 v7, v7, v13, v14
	v_div_fixup_f32 v7, v7, v3, v4
	v_fmac_f32_e32 v3, v4, v7
	v_div_scale_f32 v4, s[52:53], v3, v3, 1.0
	v_div_scale_f32 v8, vcc, 1.0, v3, 1.0
	v_rcp_f32_e32 v13, v4
	v_fma_f32 v14, -v4, v13, 1.0
	v_fmac_f32_e32 v13, v14, v13
	v_mul_f32_e32 v14, v8, v13
	v_fma_f32 v15, -v4, v14, v8
	v_fmac_f32_e32 v14, v15, v13
	v_fma_f32 v4, -v4, v14, v8
	v_div_fmas_f32 v4, v4, v13, v14
	v_fma_f32 v8, v7, v6, v5
	v_fma_f32 v5, -v7, v5, v6
	v_div_fixup_f32 v3, v4, v3, 1.0
	v_mul_f32_e32 v7, v3, v8
	v_mul_f32_e32 v8, v3, v5
.LBB13_98:                              ;   in Loop: Header=BB13_92 Depth=2
	s_or_b64 exec, exec, s[46:47]
	ds_write_b64 v9, v[7:8]
.LBB13_99:                              ;   in Loop: Header=BB13_92 Depth=2
	s_or_b64 exec, exec, s[2:3]
	v_cmp_lt_u32_e32 vcc, s49, v0
	v_cmp_ge_i32_e64 s[2:3], s50, v12
	s_and_b64 s[46:47], s[42:43], vcc
	s_and_b64 s[46:47], s[46:47], s[2:3]
	s_waitcnt lgkmcnt(0)
	s_barrier
	s_and_saveexec_b64 s[2:3], s[46:47]
	s_cbranch_execz .LBB13_101
; %bb.100:                              ;   in Loop: Header=BB13_92 Depth=2
	v_lshlrev_b64 v[3:4], 3, v[1:2]
	v_mov_b32_e32 v5, s45
	v_add_co_u32_e32 v3, vcc, s44, v3
	v_addc_co_u32_e32 v4, vcc, v5, v4, vcc
	flat_load_dwordx2 v[3:4], v[3:4]
	v_mov_b32_e32 v5, s48
	ds_read_b64 v[5:6], v5
	ds_read_b64 v[7:8], v9
	s_waitcnt vmcnt(0) lgkmcnt(0)
	v_mul_f32_e32 v13, v6, v4
	v_mul_f32_e32 v4, v5, v4
	v_fma_f32 v5, v5, v3, -v13
	v_fmac_f32_e32 v4, v6, v3
	v_sub_f32_e32 v3, v7, v5
	v_sub_f32_e32 v4, v8, v4
	ds_write_b64 v9, v[3:4]
.LBB13_101:                             ;   in Loop: Header=BB13_92 Depth=2
	s_or_b64 exec, exec, s[2:3]
	s_add_i32 s49, s49, 1
	s_add_i32 s48, s48, 8
	s_add_u32 s44, s44, s26
	s_addc_u32 s45, s45, s27
	s_cmpk_eq_i32 s49, 0x200
	v_add_u32_e32 v1, -1, v1
	s_cselect_b64 s[2:3], -1, 0
	s_and_b64 vcc, exec, s[2:3]
	s_cbranch_vccz .LBB13_92
.LBB13_102:                             ;   in Loop: Header=BB13_88 Depth=1
	s_add_i32 s60, s59, 0x200
	s_cmp_ge_i32 s60, s9
	s_cselect_b64 s[2:3], -1, 0
	s_and_b64 vcc, exec, s[2:3]
	s_waitcnt lgkmcnt(0)
	s_barrier
	s_cbranch_vccnz .LBB13_122
; %bb.103:                              ;   in Loop: Header=BB13_88 Depth=1
	v_ashrrev_i32_e32 v1, 31, v10
	v_mov_b32_e32 v4, s31
	v_add_co_u32_e32 v3, vcc, s30, v10
	v_addc_co_u32_e32 v4, vcc, v4, v1, vcc
	v_mov_b32_e32 v6, s35
	v_add_co_u32_e32 v5, vcc, s34, v10
	v_addc_co_u32_e32 v6, vcc, v6, v1, vcc
	v_lshlrev_b64 v[3:4], 3, v[3:4]
	v_lshlrev_b64 v[5:6], 3, v[5:6]
	s_mov_b64 s[42:43], 0
	v_mov_b32_e32 v1, v0
	s_mov_b64 s[44:45], s[38:39]
	s_mov_b32 s61, s60
                                        ; implicit-def: $sgpr46_sgpr47
	s_branch .LBB13_106
.LBB13_104:                             ;   in Loop: Header=BB13_106 Depth=2
	v_mad_u64_u32 v[13:14], s[50:51], s6, v12, 0
	s_addk_i32 s61, 0x200
	s_add_u32 s44, s44, 0x1000
	v_mad_u64_u32 v[14:15], s[50:51], s7, v12, v[14:15]
	v_mov_b32_e32 v15, s33
	s_addc_u32 s45, s45, 0
	v_lshlrev_b64 v[12:13], 3, v[13:14]
	s_cmp_ge_i32 s61, s9
	v_add_co_u32_e32 v12, vcc, s8, v12
	v_addc_co_u32_e32 v13, vcc, v15, v13, vcc
	flat_load_dwordx2 v[14:15], v[12:13]
	s_cselect_b64 s[50:51], -1, 0
	s_andn2_b64 s[46:47], s[46:47], exec
	s_and_b64 s[50:51], s[50:51], exec
	s_or_b64 s[46:47], s[46:47], s[50:51]
	s_waitcnt vmcnt(0) lgkmcnt(0)
	v_sub_f32_e32 v14, v14, v8
	v_sub_f32_e32 v15, v15, v7
	flat_store_dwordx2 v[12:13], v[14:15]
.LBB13_105:                             ;   in Loop: Header=BB13_106 Depth=2
	s_or_b64 exec, exec, s[48:49]
	s_and_b64 s[48:49], exec, s[46:47]
	s_or_b64 s[42:43], s[48:49], s[42:43]
	s_andn2_b64 exec, exec, s[42:43]
	s_cbranch_execz .LBB13_121
.LBB13_106:                             ;   Parent Loop BB13_88 Depth=1
                                        ; =>  This Loop Header: Depth=2
                                        ;       Child Loop BB13_109 Depth 3
	v_add_u32_e32 v12, s61, v0
	v_cmp_gt_i32_e32 vcc, s9, v12
	s_or_b64 s[46:47], s[46:47], exec
	s_and_saveexec_b64 s[48:49], vcc
	s_cbranch_execz .LBB13_105
; %bb.107:                              ;   in Loop: Header=BB13_106 Depth=2
	v_subrev_u32_e32 v13, s10, v12
	v_add_u32_e32 v14, 0x1ff, v1
	v_add_u32_e32 v1, 0x200, v1
	v_mov_b32_e32 v7, 0
	s_mov_b32 s62, 0
	s_mov_b64 s[50:51], s[12:13]
	s_mov_b64 s[52:53], s[28:29]
	s_mov_b32 s63, 0
	v_mov_b32_e32 v8, 0
	s_branch .LBB13_109
.LBB13_108:                             ;   in Loop: Header=BB13_109 Depth=3
	s_or_b64 exec, exec, s[54:55]
	s_add_i32 s63, s63, 2
	s_add_u32 s52, s52, s11
	s_addc_u32 s53, s53, s58
	s_add_i32 s62, s62, 16
	s_add_u32 s50, s50, s11
	s_addc_u32 s51, s51, s58
	s_cmpk_eq_i32 s63, 0x200
	s_cbranch_scc1 .LBB13_104
.LBB13_109:                             ;   Parent Loop BB13_88 Depth=1
                                        ;     Parent Loop BB13_106 Depth=2
                                        ; =>    This Inner Loop Header: Depth=3
	v_cmp_ne_u32_e32 vcc, s63, v1
	s_add_i32 s64, s59, s63
	s_or_b64 s[54:55], s[36:37], vcc
	s_and_saveexec_b64 s[56:57], s[54:55]
	s_xor_b64 s[54:55], exec, s[56:57]
	s_cbranch_execz .LBB13_113
; %bb.110:                              ;   in Loop: Header=BB13_109 Depth=3
	s_cmp_lt_i32 s64, s9
	s_cselect_b64 s[56:57], -1, 0
	v_cmp_ge_i32_e32 vcc, s64, v13
	s_and_b64 s[66:67], s[56:57], vcc
	s_and_saveexec_b64 s[56:57], s[66:67]
	s_cbranch_execz .LBB13_112
; %bb.111:                              ;   in Loop: Header=BB13_109 Depth=3
	s_add_u32 s65, s50, s20
	s_addc_u32 s66, s51, s21
	v_mov_b32_e32 v15, s66
	v_add_co_u32_e32 v16, vcc, s65, v5
	v_addc_co_u32_e32 v17, vcc, v15, v6, vcc
	v_mov_b32_e32 v18, s45
	v_add_co_u32_e32 v15, vcc, s44, v16
	v_addc_co_u32_e32 v16, vcc, v17, v18, vcc
	flat_load_dwordx2 v[15:16], v[15:16]
	v_mov_b32_e32 v17, s62
	ds_read_b64 v[17:18], v17
	s_waitcnt vmcnt(0) lgkmcnt(0)
	v_mul_f32_e32 v19, v18, v16
	v_mul_f32_e32 v16, v17, v16
	v_fma_f32 v17, v17, v15, -v19
	v_fmac_f32_e32 v16, v18, v15
	v_add_f32_e32 v8, v8, v17
	v_add_f32_e32 v7, v7, v16
.LBB13_112:                             ;   in Loop: Header=BB13_109 Depth=3
	s_or_b64 exec, exec, s[56:57]
.LBB13_113:                             ;   in Loop: Header=BB13_109 Depth=3
	s_andn2_saveexec_b64 s[54:55], s[54:55]
	s_cbranch_execz .LBB13_115
; %bb.114:                              ;   in Loop: Header=BB13_109 Depth=3
	v_mov_b32_e32 v15, s62
	ds_read_b64 v[15:16], v15
	s_waitcnt lgkmcnt(0)
	v_add_f32_e32 v8, v8, v15
	v_add_f32_e32 v7, v7, v16
.LBB13_115:                             ;   in Loop: Header=BB13_109 Depth=3
	s_or_b64 exec, exec, s[54:55]
	v_cmp_ne_u32_e32 vcc, s63, v14
	s_or_b64 s[54:55], s[36:37], vcc
	s_and_saveexec_b64 s[56:57], s[54:55]
	s_xor_b64 s[54:55], exec, s[56:57]
	s_cbranch_execz .LBB13_119
; %bb.116:                              ;   in Loop: Header=BB13_109 Depth=3
	s_add_i32 s64, s64, 1
	s_cmp_lt_i32 s64, s9
	s_cselect_b64 s[56:57], -1, 0
	v_cmp_ge_i32_e32 vcc, s64, v13
	s_and_b64 s[64:65], s[56:57], vcc
	s_and_saveexec_b64 s[56:57], s[64:65]
	s_cbranch_execz .LBB13_118
; %bb.117:                              ;   in Loop: Header=BB13_109 Depth=3
	s_add_u32 s64, s52, s20
	s_addc_u32 s65, s53, s21
	v_mov_b32_e32 v15, s65
	v_add_co_u32_e32 v16, vcc, s64, v3
	v_addc_co_u32_e32 v17, vcc, v15, v4, vcc
	v_mov_b32_e32 v18, s45
	v_add_co_u32_e32 v15, vcc, s44, v16
	v_addc_co_u32_e32 v16, vcc, v17, v18, vcc
	flat_load_dwordx2 v[15:16], v[15:16]
	v_mov_b32_e32 v17, s62
	ds_read_b64 v[17:18], v17 offset:8
	s_waitcnt vmcnt(0) lgkmcnt(0)
	v_mul_f32_e32 v19, v18, v16
	v_mul_f32_e32 v16, v17, v16
	v_fma_f32 v17, v17, v15, -v19
	v_fmac_f32_e32 v16, v18, v15
	v_add_f32_e32 v8, v8, v17
	v_add_f32_e32 v7, v7, v16
.LBB13_118:                             ;   in Loop: Header=BB13_109 Depth=3
	s_or_b64 exec, exec, s[56:57]
.LBB13_119:                             ;   in Loop: Header=BB13_109 Depth=3
	s_andn2_saveexec_b64 s[54:55], s[54:55]
	s_cbranch_execz .LBB13_108
; %bb.120:                              ;   in Loop: Header=BB13_109 Depth=3
	v_mov_b32_e32 v15, s62
	ds_read_b64 v[15:16], v15 offset:8
	s_waitcnt lgkmcnt(0)
	v_add_f32_e32 v8, v8, v15
	v_add_f32_e32 v7, v7, v16
	s_branch .LBB13_108
.LBB13_121:                             ;   in Loop: Header=BB13_88 Depth=1
	s_or_b64 exec, exec, s[42:43]
.LBB13_122:                             ;   in Loop: Header=BB13_88 Depth=1
	s_and_saveexec_b64 s[42:43], s[0:1]
	s_cbranch_execz .LBB13_87
; %bb.123:                              ;   in Loop: Header=BB13_88 Depth=1
	v_mad_u64_u32 v[3:4], s[0:1], s6, v11, 0
	v_mov_b32_e32 v1, v4
	v_mad_u64_u32 v[4:5], s[0:1], s7, v11, v[1:2]
	ds_read_b64 v[5:6], v9
	v_mov_b32_e32 v1, s33
	v_lshlrev_b64 v[3:4], 3, v[3:4]
	v_add_co_u32_e32 v3, vcc, s8, v3
	v_addc_co_u32_e32 v4, vcc, v1, v4, vcc
	s_waitcnt lgkmcnt(0)
	flat_store_dwordx2 v[3:4], v[5:6]
	s_branch .LBB13_87
.LBB13_124:
	s_mov_b64 s[0:1], 0
.LBB13_125:
	s_andn2_b64 vcc, exec, s[0:1]
	s_cbranch_vccnz .LBB13_165
; %bb.126:
	s_andn2_b64 vcc, exec, s[22:23]
	s_cbranch_vccnz .LBB13_165
; %bb.127:
	s_ashr_i32 s11, s10, 31
	s_add_i32 s26, s9, 0xfffffe00
	s_add_i32 s22, s9, -1
	s_lshl_b64 s[0:1], s[10:11], 3
	s_add_u32 s2, s20, s0
	s_addc_u32 s3, s21, s1
	s_ashr_i32 s23, s22, 31
	s_lshl_b64 s[0:1], s[22:23], 3
	s_sub_u32 s0, s2, s0
	s_subb_u32 s1, s3, s1
	s_add_u32 s20, s12, s0
	s_addc_u32 s21, s13, s1
	s_lshl_b64 s[24:25], s[16:17], 3
	s_add_u32 s23, s24, 8
	s_addc_u32 s36, s25, 0
	s_sub_i32 s0, s10, s9
	s_add_i32 s37, s0, 0x1ff
	s_add_u32 s0, s14, s10
	s_addc_u32 s1, s15, s11
	s_ashr_i32 s3, s9, 31
	s_mov_b32 s2, s9
	s_lshl_b64 s[0:1], s[0:1], 3
	s_lshl_b64 s[2:3], s[2:3], 3
	s_sub_u32 s0, s0, s2
	s_subb_u32 s1, s1, s3
	s_add_u32 s0, s12, s0
	s_addc_u32 s1, s13, s1
	s_add_u32 s11, s0, 0x1000
	s_addc_u32 s38, s1, 0
	s_lshl_b64 s[0:1], s[16:17], 4
	v_mov_b32_e32 v1, 0x2000
	v_add_u32_e32 v2, s9, v0
	s_add_u32 s39, s0, -16
	v_lshl_or_b32 v14, v0, 3, v1
	v_add_u32_e32 v1, 0xfffffe00, v2
	v_add_u32_e32 v15, 0xfffffc00, v2
	s_addc_u32 s40, s1, -1
	v_mov_b32_e32 v3, 0
	s_xor_b64 s[12:13], s[18:19], -1
	s_branch .LBB13_129
.LBB13_128:                             ;   in Loop: Header=BB13_129 Depth=1
	s_or_b64 exec, exec, s[14:15]
	s_addk_i32 s22, 0xfe00
	s_add_u32 s20, s20, 0x1000
	s_addc_u32 s21, s21, 0
	s_addk_i32 s9, 0xfe00
	s_addk_i32 s37, 0x200
	s_add_u32 s11, s11, 0x1000
	v_add_u32_e32 v1, 0xfffffe00, v1
	s_addc_u32 s38, s38, 0
	v_add_u32_e32 v15, 0xfffffe00, v15
	s_and_b64 vcc, exec, s[2:3]
	s_mov_b32 s26, s41
	s_waitcnt vmcnt(0) lgkmcnt(0)
	s_barrier
	s_cbranch_vccnz .LBB13_165
.LBB13_129:                             ; =>This Loop Header: Depth=1
                                        ;     Child Loop BB13_134 Depth 2
                                        ;     Child Loop BB13_147 Depth 2
                                        ;       Child Loop BB13_150 Depth 3
	v_add_u32_e32 v16, s26, v0
	v_cmp_gt_i32_e32 vcc, 0, v16
	v_cmp_lt_i32_e64 s[0:1], -1, v16
	s_and_saveexec_b64 s[14:15], s[0:1]
	s_cbranch_execz .LBB13_131
; %bb.130:                              ;   in Loop: Header=BB13_129 Depth=1
	v_mad_u64_u32 v[4:5], s[2:3], s6, v16, 0
	v_mov_b32_e32 v2, v5
	v_mad_u64_u32 v[5:6], s[2:3], s7, v16, v[2:3]
	v_mov_b32_e32 v2, s33
	v_lshlrev_b64 v[4:5], 3, v[4:5]
	v_add_co_u32_e64 v4, s[2:3], s8, v4
	v_addc_co_u32_e64 v5, s[2:3], v2, v5, s[2:3]
	flat_load_dwordx2 v[4:5], v[4:5]
	s_waitcnt vmcnt(0) lgkmcnt(0)
	ds_write_b64 v14, v[4:5]
.LBB13_131:                             ;   in Loop: Header=BB13_129 Depth=1
	s_or_b64 exec, exec, s[14:15]
	v_mov_b32_e32 v2, v3
	v_lshlrev_b64 v[4:5], 3, v[1:2]
	v_mov_b32_e32 v2, s21
	v_add_co_u32_e64 v4, s[2:3], s20, v4
	v_mov_b32_e32 v6, s20
	v_addc_co_u32_e64 v5, s[2:3], v2, v5, s[2:3]
	v_add_u32_e32 v2, s10, v16
	s_movk_i32 s27, 0x1ff
	s_movk_i32 s28, 0x2ff8
	v_mov_b32_e32 v7, s21
	s_xor_b64 s[14:15], vcc, -1
	s_mov_b32 s29, s22
	s_waitcnt lgkmcnt(0)
	s_barrier
	s_branch .LBB13_134
.LBB13_132:                             ;   in Loop: Header=BB13_134 Depth=2
	s_or_b64 exec, exec, s[2:3]
	v_add_co_u32_e32 v4, vcc, 8, v4
	s_add_i32 s27, s27, -1
	s_add_i32 s28, s28, -8
	v_addc_co_u32_e32 v5, vcc, 0, v5, vcc
	s_add_i32 s29, s29, -1
	v_add_co_u32_e32 v6, vcc, 8, v6
	s_cmp_eq_u32 s27, -1
	v_addc_co_u32_e32 v7, vcc, 0, v7, vcc
	s_cselect_b64 s[2:3], -1, 0
.LBB13_133:                             ;   in Loop: Header=BB13_134 Depth=2
	s_and_b64 vcc, exec, s[2:3]
	s_cbranch_vccnz .LBB13_143
.LBB13_134:                             ;   Parent Loop BB13_129 Depth=1
                                        ; =>  This Inner Loop Header: Depth=2
	s_add_i32 s30, s22, s27
	s_addk_i32 s30, 0xfe01
	s_cmp_lt_i32 s30, 0
	s_mov_b64 s[2:3], -1
	s_cbranch_scc1 .LBB13_133
; %bb.135:                              ;   in Loop: Header=BB13_134 Depth=2
	v_cmp_eq_u32_e32 vcc, s27, v0
	s_and_b64 s[18:19], s[12:13], vcc
	s_and_saveexec_b64 s[2:3], s[18:19]
	s_cbranch_execz .LBB13_141
; %bb.136:                              ;   in Loop: Header=BB13_134 Depth=2
	s_mul_i32 s18, s36, s29
	s_mul_hi_u32 s19, s23, s29
	s_add_i32 s18, s19, s18
	s_mul_i32 s19, s23, s29
	v_mov_b32_e32 v9, s18
	v_add_co_u32_e32 v8, vcc, s19, v6
	v_addc_co_u32_e32 v9, vcc, v7, v9, vcc
	flat_load_dwordx2 v[8:9], v[8:9]
	ds_read_b64 v[10:11], v14
                                        ; implicit-def: $vgpr12
	s_waitcnt vmcnt(0) lgkmcnt(0)
	v_cmp_ngt_f32_e64 s[18:19], |v8|, |v9|
	s_and_saveexec_b64 s[34:35], s[18:19]
	s_xor_b64 s[18:19], exec, s[34:35]
	s_cbranch_execz .LBB13_138
; %bb.137:                              ;   in Loop: Header=BB13_134 Depth=2
	v_div_scale_f32 v12, s[34:35], v9, v9, v8
	v_div_scale_f32 v13, vcc, v8, v9, v8
	v_rcp_f32_e32 v17, v12
	v_fma_f32 v18, -v12, v17, 1.0
	v_fmac_f32_e32 v17, v18, v17
	v_mul_f32_e32 v18, v13, v17
	v_fma_f32 v19, -v12, v18, v13
	v_fmac_f32_e32 v18, v19, v17
	v_fma_f32 v12, -v12, v18, v13
	v_div_fmas_f32 v12, v12, v17, v18
	v_div_fixup_f32 v12, v12, v9, v8
	v_fmac_f32_e32 v9, v8, v12
	v_div_scale_f32 v8, s[34:35], v9, v9, 1.0
	v_div_scale_f32 v13, vcc, 1.0, v9, 1.0
	v_rcp_f32_e32 v17, v8
	v_fma_f32 v18, -v8, v17, 1.0
	v_fmac_f32_e32 v17, v18, v17
	v_mul_f32_e32 v18, v13, v17
	v_fma_f32 v19, -v8, v18, v13
	v_fmac_f32_e32 v18, v19, v17
	v_fma_f32 v8, -v8, v18, v13
	v_div_fmas_f32 v8, v8, v17, v18
	v_fma_f32 v13, v12, v10, v11
	v_fma_f32 v10, v12, v11, -v10
	v_div_fixup_f32 v8, v8, v9, 1.0
	v_mul_f32_e32 v12, v8, v13
	v_mul_f32_e32 v13, v8, v10
                                        ; implicit-def: $vgpr8_vgpr9
                                        ; implicit-def: $vgpr10_vgpr11
.LBB13_138:                             ;   in Loop: Header=BB13_134 Depth=2
	s_andn2_saveexec_b64 s[18:19], s[18:19]
	s_cbranch_execz .LBB13_140
; %bb.139:                              ;   in Loop: Header=BB13_134 Depth=2
	v_div_scale_f32 v12, s[34:35], v8, v8, v9
	v_div_scale_f32 v13, vcc, v9, v8, v9
	v_rcp_f32_e32 v17, v12
	v_fma_f32 v18, -v12, v17, 1.0
	v_fmac_f32_e32 v17, v18, v17
	v_mul_f32_e32 v18, v13, v17
	v_fma_f32 v19, -v12, v18, v13
	v_fmac_f32_e32 v18, v19, v17
	v_fma_f32 v12, -v12, v18, v13
	v_div_fmas_f32 v12, v12, v17, v18
	v_div_fixup_f32 v12, v12, v8, v9
	v_fmac_f32_e32 v8, v9, v12
	v_div_scale_f32 v9, s[34:35], v8, v8, 1.0
	v_div_scale_f32 v13, vcc, 1.0, v8, 1.0
	v_rcp_f32_e32 v17, v9
	v_fma_f32 v18, -v9, v17, 1.0
	v_fmac_f32_e32 v17, v18, v17
	v_mul_f32_e32 v18, v13, v17
	v_fma_f32 v19, -v9, v18, v13
	v_fmac_f32_e32 v18, v19, v17
	v_fma_f32 v9, -v9, v18, v13
	v_div_fmas_f32 v9, v9, v17, v18
	v_fma_f32 v13, v12, v11, v10
	v_fma_f32 v10, -v12, v10, v11
	v_div_fixup_f32 v8, v9, v8, 1.0
	v_mul_f32_e32 v12, v8, v13
	v_mul_f32_e32 v13, v8, v10
.LBB13_140:                             ;   in Loop: Header=BB13_134 Depth=2
	s_or_b64 exec, exec, s[18:19]
	ds_write_b64 v14, v[12:13]
.LBB13_141:                             ;   in Loop: Header=BB13_134 Depth=2
	s_or_b64 exec, exec, s[2:3]
	v_cmp_gt_u32_e32 vcc, s27, v0
	v_cmp_le_i32_e64 s[2:3], s30, v2
	s_and_b64 s[18:19], s[14:15], vcc
	s_and_b64 s[18:19], s[18:19], s[2:3]
	s_waitcnt lgkmcnt(0)
	s_barrier
	s_and_saveexec_b64 s[2:3], s[18:19]
	s_cbranch_execz .LBB13_132
; %bb.142:                              ;   in Loop: Header=BB13_134 Depth=2
	v_mov_b32_e32 v8, s29
	v_mad_u64_u32 v[8:9], s[18:19], s24, v8, v[4:5]
	s_mul_i32 s18, s25, s29
	v_mov_b32_e32 v10, s28
	v_add_u32_e32 v9, s18, v9
	flat_load_dwordx2 v[8:9], v[8:9]
	ds_read_b64 v[10:11], v10
	ds_read_b64 v[12:13], v14
	s_waitcnt vmcnt(0) lgkmcnt(0)
	v_mul_f32_e32 v17, v11, v9
	v_mul_f32_e32 v9, v10, v9
	v_fma_f32 v10, v10, v8, -v17
	v_fmac_f32_e32 v9, v11, v8
	v_sub_f32_e32 v8, v12, v10
	v_sub_f32_e32 v9, v13, v9
	ds_write_b64 v14, v[8:9]
	s_branch .LBB13_132
.LBB13_143:                             ;   in Loop: Header=BB13_129 Depth=1
	s_add_i32 s41, s26, 0xfffffe00
	s_cmp_lt_i32 s26, 1
	s_cselect_b64 s[2:3], -1, 0
	s_and_b64 vcc, exec, s[2:3]
	s_waitcnt lgkmcnt(0)
	s_barrier
	s_cbranch_vccnz .LBB13_163
; %bb.144:                              ;   in Loop: Header=BB13_129 Depth=1
	s_mul_i32 s14, s25, s26
	s_mul_hi_u32 s15, s24, s26
	s_add_i32 s15, s15, s14
	s_mul_i32 s14, s24, s26
	s_add_u32 s42, s11, s14
	s_addc_u32 s43, s38, s15
	s_mov_b64 s[14:15], 0
	v_mov_b32_e32 v4, v15
	v_mov_b32_e32 v7, v0
	s_mov_b32 s44, s41
                                        ; implicit-def: $sgpr18_sgpr19
	s_branch .LBB13_147
.LBB13_145:                             ;   in Loop: Header=BB13_147 Depth=2
	v_mad_u64_u32 v[5:6], s[28:29], s6, v2, 0
	s_add_i32 s30, s44, 0xfffffe00
	s_cmp_lt_i32 s44, 1
	v_mad_u64_u32 v[10:11], s[28:29], s7, v2, v[6:7]
	v_mov_b32_e32 v2, s33
	s_cselect_b64 s[28:29], -1, 0
	v_mov_b32_e32 v6, v10
	v_lshlrev_b64 v[5:6], 3, v[5:6]
	s_andn2_b64 s[18:19], s[18:19], exec
	v_add_co_u32_e32 v5, vcc, s8, v5
	v_addc_co_u32_e32 v6, vcc, v2, v6, vcc
	flat_load_dwordx2 v[10:11], v[5:6]
	s_and_b64 s[28:29], s[28:29], exec
	v_add_u32_e32 v4, 0xfffffe00, v4
	s_or_b64 s[18:19], s[18:19], s[28:29]
	s_mov_b32 s44, s30
	s_waitcnt vmcnt(0) lgkmcnt(0)
	v_sub_f32_e32 v9, v10, v9
	v_sub_f32_e32 v10, v11, v8
	flat_store_dwordx2 v[5:6], v[9:10]
.LBB13_146:                             ;   in Loop: Header=BB13_147 Depth=2
	s_or_b64 exec, exec, s[26:27]
	s_and_b64 s[26:27], exec, s[18:19]
	s_or_b64 s[14:15], s[26:27], s[14:15]
	s_andn2_b64 exec, exec, s[14:15]
	s_cbranch_execz .LBB13_162
.LBB13_147:                             ;   Parent Loop BB13_129 Depth=1
                                        ; =>  This Loop Header: Depth=2
                                        ;       Child Loop BB13_150 Depth 3
	v_add_u32_e32 v2, s44, v0
	v_cmp_lt_i32_e32 vcc, -1, v2
	s_or_b64 s[18:19], s[18:19], exec
	s_and_saveexec_b64 s[26:27], vcc
	s_cbranch_execz .LBB13_146
; %bb.148:                              ;   in Loop: Header=BB13_147 Depth=2
	v_mov_b32_e32 v5, v3
	v_lshlrev_b64 v[5:6], 3, v[4:5]
	v_mov_b32_e32 v8, s43
	v_add_co_u32_e32 v5, vcc, s42, v5
	v_addc_co_u32_e32 v6, vcc, v8, v6, vcc
	v_lshlrev_b64 v[8:9], 3, v[2:3]
	v_mov_b32_e32 v11, s5
	v_add_co_u32_e32 v10, vcc, s4, v8
	v_addc_co_u32_e32 v11, vcc, v11, v9, vcc
	v_add_u32_e32 v12, s10, v2
	v_add_u32_e32 v13, 0xfffffdff, v7
	;; [unrolled: 1-line block ×3, first 2 shown]
	v_mov_b32_e32 v8, 0
	s_mov_b32 s45, 0
	s_movk_i32 s46, 0x2000
	s_mov_b32 s28, s37
	v_mov_b32_e32 v9, 0
	s_branch .LBB13_150
.LBB13_149:                             ;   in Loop: Header=BB13_150 Depth=3
	s_or_b64 exec, exec, s[30:31]
	s_add_i32 s45, s45, 2
	s_add_i32 s46, s46, 16
	s_add_i32 s28, s28, -2
	v_mov_b32_e32 v17, s40
	v_add_co_u32_e32 v5, vcc, s39, v5
	s_cmpk_eq_i32 s45, 0x200
	v_addc_co_u32_e32 v6, vcc, v6, v17, vcc
	s_cbranch_scc1 .LBB13_145
.LBB13_150:                             ;   Parent Loop BB13_129 Depth=1
                                        ;     Parent Loop BB13_147 Depth=2
                                        ; =>    This Inner Loop Header: Depth=3
	v_cmp_ne_u32_e32 vcc, s45, v7
	s_add_i32 s29, s9, s45
	s_or_b64 s[30:31], s[12:13], vcc
	s_and_saveexec_b64 s[34:35], s[30:31]
	s_xor_b64 s[30:31], exec, s[34:35]
	s_cbranch_execz .LBB13_154
; %bb.151:                              ;   in Loop: Header=BB13_150 Depth=3
	s_add_i32 s34, s29, 0xfffffe00
	v_cmp_le_i32_e32 vcc, s34, v12
	s_and_saveexec_b64 s[34:35], vcc
	s_cbranch_execz .LBB13_153
; %bb.152:                              ;   in Loop: Header=BB13_150 Depth=3
	flat_load_dwordx2 v[17:18], v[5:6]
	v_mov_b32_e32 v19, s46
	ds_read_b64 v[19:20], v19
	s_waitcnt vmcnt(0) lgkmcnt(0)
	v_mul_f32_e32 v21, v20, v18
	v_mul_f32_e32 v18, v19, v18
	v_fma_f32 v19, v19, v17, -v21
	v_fmac_f32_e32 v18, v20, v17
	v_add_f32_e32 v9, v9, v19
	v_add_f32_e32 v8, v8, v18
.LBB13_153:                             ;   in Loop: Header=BB13_150 Depth=3
	s_or_b64 exec, exec, s[34:35]
.LBB13_154:                             ;   in Loop: Header=BB13_150 Depth=3
	s_andn2_saveexec_b64 s[30:31], s[30:31]
	s_cbranch_execz .LBB13_156
; %bb.155:                              ;   in Loop: Header=BB13_150 Depth=3
	v_mov_b32_e32 v17, s46
	ds_read_b64 v[17:18], v17
	s_waitcnt lgkmcnt(0)
	v_add_f32_e32 v9, v9, v17
	v_add_f32_e32 v8, v8, v18
.LBB13_156:                             ;   in Loop: Header=BB13_150 Depth=3
	s_or_b64 exec, exec, s[30:31]
	v_cmp_ne_u32_e32 vcc, s45, v13
	s_or_b64 s[30:31], s[12:13], vcc
	s_and_saveexec_b64 s[34:35], s[30:31]
	s_xor_b64 s[30:31], exec, s[34:35]
	s_cbranch_execz .LBB13_160
; %bb.157:                              ;   in Loop: Header=BB13_150 Depth=3
	s_addk_i32 s29, 0xfe01
	v_cmp_le_i32_e32 vcc, s29, v12
	s_and_saveexec_b64 s[34:35], vcc
	s_cbranch_execz .LBB13_159
; %bb.158:                              ;   in Loop: Header=BB13_150 Depth=3
	s_mul_i32 s47, s17, s29
	s_mul_hi_u32 s48, s16, s29
	s_add_i32 s49, s48, s47
	s_mul_i32 s48, s16, s29
	s_lshl_b64 s[48:49], s[48:49], 3
	s_ashr_i32 s29, s28, 31
	v_mov_b32_e32 v17, s49
	v_add_co_u32_e32 v18, vcc, s48, v10
	v_addc_co_u32_e32 v19, vcc, v11, v17, vcc
	s_lshl_b64 s[48:49], s[28:29], 3
	v_mov_b32_e32 v20, s49
	v_add_co_u32_e32 v17, vcc, s48, v18
	v_addc_co_u32_e32 v18, vcc, v19, v20, vcc
	flat_load_dwordx2 v[17:18], v[17:18]
	v_mov_b32_e32 v19, s46
	ds_read_b64 v[19:20], v19 offset:8
	s_waitcnt vmcnt(0) lgkmcnt(0)
	v_mul_f32_e32 v21, v20, v18
	v_mul_f32_e32 v18, v19, v18
	v_fma_f32 v19, v19, v17, -v21
	v_fmac_f32_e32 v18, v20, v17
	v_add_f32_e32 v9, v9, v19
	v_add_f32_e32 v8, v8, v18
.LBB13_159:                             ;   in Loop: Header=BB13_150 Depth=3
	s_or_b64 exec, exec, s[34:35]
.LBB13_160:                             ;   in Loop: Header=BB13_150 Depth=3
	s_andn2_saveexec_b64 s[30:31], s[30:31]
	s_cbranch_execz .LBB13_149
; %bb.161:                              ;   in Loop: Header=BB13_150 Depth=3
	v_mov_b32_e32 v17, s46
	ds_read_b64 v[17:18], v17 offset:8
	s_waitcnt lgkmcnt(0)
	v_add_f32_e32 v9, v9, v17
	v_add_f32_e32 v8, v8, v18
	s_branch .LBB13_149
.LBB13_162:                             ;   in Loop: Header=BB13_129 Depth=1
	s_or_b64 exec, exec, s[14:15]
.LBB13_163:                             ;   in Loop: Header=BB13_129 Depth=1
	s_and_saveexec_b64 s[14:15], s[0:1]
	s_cbranch_execz .LBB13_128
; %bb.164:                              ;   in Loop: Header=BB13_129 Depth=1
	v_mad_u64_u32 v[4:5], s[0:1], s6, v16, 0
	v_mov_b32_e32 v2, v5
	v_mad_u64_u32 v[5:6], s[0:1], s7, v16, v[2:3]
	ds_read_b64 v[6:7], v14
	v_mov_b32_e32 v2, s33
	v_lshlrev_b64 v[4:5], 3, v[4:5]
	v_add_co_u32_e32 v4, vcc, s8, v4
	v_addc_co_u32_e32 v5, vcc, v2, v5, vcc
	s_waitcnt lgkmcnt(0)
	flat_store_dwordx2 v[4:5], v[6:7]
	s_branch .LBB13_128
.LBB13_165:
	s_endpgm
	.section	.rodata,"a",@progbits
	.p2align	6, 0x0
	.amdhsa_kernel _ZL19rocblas_tbsv_kernelILb0ELi512EPKPK19rocblas_complex_numIfEPKPS1_Ev18rocblas_operation_bbiiT1_lllT2_lll
		.amdhsa_group_segment_fixed_size 16384
		.amdhsa_private_segment_fixed_size 0
		.amdhsa_kernarg_size 80
		.amdhsa_user_sgpr_count 6
		.amdhsa_user_sgpr_private_segment_buffer 1
		.amdhsa_user_sgpr_dispatch_ptr 0
		.amdhsa_user_sgpr_queue_ptr 0
		.amdhsa_user_sgpr_kernarg_segment_ptr 1
		.amdhsa_user_sgpr_dispatch_id 0
		.amdhsa_user_sgpr_flat_scratch_init 0
		.amdhsa_user_sgpr_private_segment_size 0
		.amdhsa_uses_dynamic_stack 0
		.amdhsa_system_sgpr_private_segment_wavefront_offset 0
		.amdhsa_system_sgpr_workgroup_id_x 1
		.amdhsa_system_sgpr_workgroup_id_y 0
		.amdhsa_system_sgpr_workgroup_id_z 0
		.amdhsa_system_sgpr_workgroup_info 0
		.amdhsa_system_vgpr_workitem_id 0
		.amdhsa_next_free_vgpr 29
		.amdhsa_next_free_sgpr 68
		.amdhsa_reserve_vcc 1
		.amdhsa_reserve_flat_scratch 0
		.amdhsa_float_round_mode_32 0
		.amdhsa_float_round_mode_16_64 0
		.amdhsa_float_denorm_mode_32 3
		.amdhsa_float_denorm_mode_16_64 3
		.amdhsa_dx10_clamp 1
		.amdhsa_ieee_mode 1
		.amdhsa_fp16_overflow 0
		.amdhsa_exception_fp_ieee_invalid_op 0
		.amdhsa_exception_fp_denorm_src 0
		.amdhsa_exception_fp_ieee_div_zero 0
		.amdhsa_exception_fp_ieee_overflow 0
		.amdhsa_exception_fp_ieee_underflow 0
		.amdhsa_exception_fp_ieee_inexact 0
		.amdhsa_exception_int_div_zero 0
	.end_amdhsa_kernel
	.section	.text._ZL19rocblas_tbsv_kernelILb0ELi512EPKPK19rocblas_complex_numIfEPKPS1_Ev18rocblas_operation_bbiiT1_lllT2_lll,"axG",@progbits,_ZL19rocblas_tbsv_kernelILb0ELi512EPKPK19rocblas_complex_numIfEPKPS1_Ev18rocblas_operation_bbiiT1_lllT2_lll,comdat
.Lfunc_end13:
	.size	_ZL19rocblas_tbsv_kernelILb0ELi512EPKPK19rocblas_complex_numIfEPKPS1_Ev18rocblas_operation_bbiiT1_lllT2_lll, .Lfunc_end13-_ZL19rocblas_tbsv_kernelILb0ELi512EPKPK19rocblas_complex_numIfEPKPS1_Ev18rocblas_operation_bbiiT1_lllT2_lll
                                        ; -- End function
	.set _ZL19rocblas_tbsv_kernelILb0ELi512EPKPK19rocblas_complex_numIfEPKPS1_Ev18rocblas_operation_bbiiT1_lllT2_lll.num_vgpr, 23
	.set _ZL19rocblas_tbsv_kernelILb0ELi512EPKPK19rocblas_complex_numIfEPKPS1_Ev18rocblas_operation_bbiiT1_lllT2_lll.num_agpr, 0
	.set _ZL19rocblas_tbsv_kernelILb0ELi512EPKPK19rocblas_complex_numIfEPKPS1_Ev18rocblas_operation_bbiiT1_lllT2_lll.numbered_sgpr, 68
	.set _ZL19rocblas_tbsv_kernelILb0ELi512EPKPK19rocblas_complex_numIfEPKPS1_Ev18rocblas_operation_bbiiT1_lllT2_lll.num_named_barrier, 0
	.set _ZL19rocblas_tbsv_kernelILb0ELi512EPKPK19rocblas_complex_numIfEPKPS1_Ev18rocblas_operation_bbiiT1_lllT2_lll.private_seg_size, 0
	.set _ZL19rocblas_tbsv_kernelILb0ELi512EPKPK19rocblas_complex_numIfEPKPS1_Ev18rocblas_operation_bbiiT1_lllT2_lll.uses_vcc, 1
	.set _ZL19rocblas_tbsv_kernelILb0ELi512EPKPK19rocblas_complex_numIfEPKPS1_Ev18rocblas_operation_bbiiT1_lllT2_lll.uses_flat_scratch, 0
	.set _ZL19rocblas_tbsv_kernelILb0ELi512EPKPK19rocblas_complex_numIfEPKPS1_Ev18rocblas_operation_bbiiT1_lllT2_lll.has_dyn_sized_stack, 0
	.set _ZL19rocblas_tbsv_kernelILb0ELi512EPKPK19rocblas_complex_numIfEPKPS1_Ev18rocblas_operation_bbiiT1_lllT2_lll.has_recursion, 0
	.set _ZL19rocblas_tbsv_kernelILb0ELi512EPKPK19rocblas_complex_numIfEPKPS1_Ev18rocblas_operation_bbiiT1_lllT2_lll.has_indirect_call, 0
	.section	.AMDGPU.csdata,"",@progbits
; Kernel info:
; codeLenInByte = 6932
; TotalNumSgprs: 72
; NumVgprs: 23
; ScratchSize: 0
; MemoryBound: 0
; FloatMode: 240
; IeeeMode: 1
; LDSByteSize: 16384 bytes/workgroup (compile time only)
; SGPRBlocks: 8
; VGPRBlocks: 7
; NumSGPRsForWavesPerEU: 72
; NumVGPRsForWavesPerEU: 29
; Occupancy: 8
; WaveLimiterHint : 1
; COMPUTE_PGM_RSRC2:SCRATCH_EN: 0
; COMPUTE_PGM_RSRC2:USER_SGPR: 6
; COMPUTE_PGM_RSRC2:TRAP_HANDLER: 0
; COMPUTE_PGM_RSRC2:TGID_X_EN: 1
; COMPUTE_PGM_RSRC2:TGID_Y_EN: 0
; COMPUTE_PGM_RSRC2:TGID_Z_EN: 0
; COMPUTE_PGM_RSRC2:TIDIG_COMP_CNT: 0
	.section	.text._ZL19rocblas_tbsv_kernelILb1ELi512EPKPK19rocblas_complex_numIdEPKPS1_Ev18rocblas_operation_bbiiT1_lllT2_lll,"axG",@progbits,_ZL19rocblas_tbsv_kernelILb1ELi512EPKPK19rocblas_complex_numIdEPKPS1_Ev18rocblas_operation_bbiiT1_lllT2_lll,comdat
	.globl	_ZL19rocblas_tbsv_kernelILb1ELi512EPKPK19rocblas_complex_numIdEPKPS1_Ev18rocblas_operation_bbiiT1_lllT2_lll ; -- Begin function _ZL19rocblas_tbsv_kernelILb1ELi512EPKPK19rocblas_complex_numIdEPKPS1_Ev18rocblas_operation_bbiiT1_lllT2_lll
	.p2align	8
	.type	_ZL19rocblas_tbsv_kernelILb1ELi512EPKPK19rocblas_complex_numIdEPKPS1_Ev18rocblas_operation_bbiiT1_lllT2_lll,@function
_ZL19rocblas_tbsv_kernelILb1ELi512EPKPK19rocblas_complex_numIdEPKPS1_Ev18rocblas_operation_bbiiT1_lllT2_lll: ; @_ZL19rocblas_tbsv_kernelILb1ELi512EPKPK19rocblas_complex_numIdEPKPS1_Ev18rocblas_operation_bbiiT1_lllT2_lll
; %bb.0:
	s_load_dwordx2 s[26:27], s[4:5], 0x0
	s_load_dwordx4 s[8:11], s[4:5], 0x4
	s_load_dwordx4 s[12:15], s[4:5], 0x10
	s_load_dwordx2 s[16:17], s[4:5], 0x20
	s_mov_b32 s7, 0
	s_waitcnt lgkmcnt(0)
	s_bitcmp1_b32 s27, 0
	s_cselect_b64 s[0:1], -1, 0
	s_xor_b64 s[24:25], s[0:1], -1
	s_bitcmp1_b32 s8, 8
	s_cselect_b64 s[18:19], -1, 0
	s_lshl_b64 s[22:23], s[6:7], 3
	s_add_u32 s20, s12, s22
	s_addc_u32 s21, s13, s23
	s_load_dwordx2 s[12:13], s[20:21], 0x0
	s_load_dwordx4 s[0:3], s[4:5], 0x30
	s_load_dwordx2 s[6:7], s[4:5], 0x40
	s_lshl_b64 s[20:21], s[14:15], 4
	s_waitcnt lgkmcnt(0)
	s_add_u32 s4, s12, s20
	s_addc_u32 s5, s13, s21
	s_add_u32 s0, s0, s22
	s_addc_u32 s1, s1, s23
	s_load_dwordx2 s[0:1], s[0:1], 0x0
	s_lshl_b64 s[2:3], s[2:3], 4
	s_waitcnt lgkmcnt(0)
	s_add_u32 s8, s0, s2
	s_addc_u32 s33, s1, s3
	s_cmp_gt_i32 s9, 0
	s_cselect_b64 s[22:23], -1, 0
	s_cmpk_lg_i32 s26, 0x6f
	s_mov_b64 s[0:1], -1
	s_cbranch_scc0 .LBB14_83
; %bb.1:
	s_and_b64 vcc, exec, s[24:25]
	s_cbranch_vccz .LBB14_42
; %bb.2:
	s_andn2_b64 vcc, exec, s[22:23]
	s_cbranch_vccnz .LBB14_41
; %bb.3:
	s_ashr_i32 s1, s9, 31
	s_mov_b32 s0, s9
	s_add_i32 s38, s9, 0xfffffe00
	s_add_i32 s11, s9, -1
	s_lshl_b64 s[0:1], s[0:1], 4
	s_add_u32 s0, s20, s0
	s_addc_u32 s1, s21, s1
	s_add_u32 s0, s12, s0
	v_mov_b32_e32 v1, 0x6000
	s_addc_u32 s1, s13, s1
	v_lshl_or_b32 v15, v0, 4, v1
	s_add_u32 s26, s0, 0xffffe000
	v_add_u32_e32 v1, s9, v0
	v_sub_u32_e32 v16, 0, v0
	s_addc_u32 s27, s1, -1
	v_add_u32_e32 v17, 0xfffffc00, v1
	s_lshl_b64 s[28:29], s[16:17], 4
	v_mov_b32_e32 v18, s5
	s_xor_b64 s[30:31], s[18:19], -1
	v_mov_b32_e32 v14, 0
	s_mov_b32 s44, s9
	s_branch .LBB14_5
.LBB14_4:                               ;   in Loop: Header=BB14_5 Depth=1
	s_or_b64 exec, exec, s[34:35]
	s_addk_i32 s11, 0xfe00
	s_addk_i32 s44, 0xfe00
	s_add_u32 s26, s26, 0xffffe000
	s_addc_u32 s27, s27, -1
	v_add_u32_e32 v17, 0xfffffe00, v17
	s_andn2_b64 vcc, exec, s[2:3]
	s_mov_b32 s38, s45
	s_waitcnt vmcnt(0) lgkmcnt(0)
	s_barrier
	s_cbranch_vccz .LBB14_41
.LBB14_5:                               ; =>This Loop Header: Depth=1
                                        ;     Child Loop BB14_10 Depth 2
                                        ;     Child Loop BB14_23 Depth 2
                                        ;       Child Loop BB14_26 Depth 3
	v_add_u32_e32 v19, s38, v0
	v_cmp_gt_i32_e32 vcc, 0, v19
	v_cmp_lt_i32_e64 s[0:1], -1, v19
	s_and_saveexec_b64 s[34:35], s[0:1]
	s_cbranch_execz .LBB14_7
; %bb.6:                                ;   in Loop: Header=BB14_5 Depth=1
	v_mad_u64_u32 v[1:2], s[2:3], s6, v19, 0
	v_mad_u64_u32 v[2:3], s[2:3], s7, v19, v[2:3]
	v_mov_b32_e32 v3, s33
	v_lshlrev_b64 v[1:2], 4, v[1:2]
	v_add_co_u32_e64 v1, s[2:3], s8, v1
	v_addc_co_u32_e64 v2, s[2:3], v3, v2, s[2:3]
	flat_load_dwordx4 v[1:4], v[1:2]
	s_waitcnt vmcnt(0) lgkmcnt(0)
	ds_write2_b64 v15, v[1:2], v[3:4] offset1:1
.LBB14_7:                               ;   in Loop: Header=BB14_5 Depth=1
	s_or_b64 exec, exec, s[34:35]
	v_ashrrev_i32_e32 v1, 31, v19
	v_mul_lo_u32 v3, s17, v19
	v_mul_lo_u32 v4, s16, v1
	v_mad_u64_u32 v[1:2], s[2:3], s16, v19, 0
	v_add_u32_e32 v20, s10, v19
	s_movk_i32 s39, 0x1ff
	v_add3_u32 v2, v2, v4, v3
	v_lshlrev_b64 v[1:2], 4, v[1:2]
	s_movk_i32 s40, 0x7ff0
	v_add_co_u32_e64 v21, s[2:3], s4, v1
	v_addc_co_u32_e64 v22, s[2:3], v18, v2, s[2:3]
	s_xor_b64 s[34:35], vcc, -1
	s_waitcnt lgkmcnt(0)
	s_barrier
	s_branch .LBB14_10
.LBB14_8:                               ;   in Loop: Header=BB14_10 Depth=2
	s_or_b64 exec, exec, s[2:3]
	s_add_i32 s39, s39, -1
	s_add_i32 s40, s40, -16
	s_cmp_eq_u32 s39, -1
	s_cselect_b64 s[2:3], -1, 0
.LBB14_9:                               ;   in Loop: Header=BB14_10 Depth=2
	s_and_b64 vcc, exec, s[2:3]
	s_cbranch_vccnz .LBB14_19
.LBB14_10:                              ;   Parent Loop BB14_5 Depth=1
                                        ; =>  This Inner Loop Header: Depth=2
	s_add_i32 s41, s11, s39
	s_addk_i32 s41, 0xfe01
	s_cmp_lt_i32 s41, 0
	s_mov_b64 s[2:3], -1
	s_cbranch_scc1 .LBB14_9
; %bb.11:                               ;   in Loop: Header=BB14_10 Depth=2
	v_add_u32_e32 v13, s39, v16
	v_cmp_eq_u32_e32 vcc, 0, v13
	s_and_b64 s[36:37], s[30:31], vcc
	s_and_saveexec_b64 s[2:3], s[36:37]
	s_cbranch_execz .LBB14_17
; %bb.12:                               ;   in Loop: Header=BB14_10 Depth=2
	s_mul_i32 s36, s17, s41
	s_mul_hi_u32 s37, s16, s41
	s_add_i32 s37, s37, s36
	s_mul_i32 s36, s16, s41
	s_lshl_b64 s[36:37], s[36:37], 4
	s_add_u32 s36, s4, s36
	s_addc_u32 s37, s5, s37
	v_mov_b32_e32 v1, s36
	v_mov_b32_e32 v2, s37
	flat_load_dwordx4 v[5:8], v[1:2]
	ds_read_b128 v[1:4], v15
                                        ; implicit-def: $vgpr9_vgpr10
	s_waitcnt vmcnt(0) lgkmcnt(0)
	v_cmp_ngt_f64_e64 s[36:37], |v[5:6]|, |v[7:8]|
	s_and_saveexec_b64 s[42:43], s[36:37]
	s_xor_b64 s[36:37], exec, s[42:43]
	s_cbranch_execz .LBB14_14
; %bb.13:                               ;   in Loop: Header=BB14_10 Depth=2
	v_div_scale_f64 v[9:10], s[42:43], -v[7:8], -v[7:8], v[5:6]
	v_rcp_f64_e32 v[11:12], v[9:10]
	v_fma_f64 v[23:24], -v[9:10], v[11:12], 1.0
	v_fma_f64 v[11:12], v[11:12], v[23:24], v[11:12]
	v_div_scale_f64 v[23:24], vcc, v[5:6], -v[7:8], v[5:6]
	v_fma_f64 v[25:26], -v[9:10], v[11:12], 1.0
	v_fma_f64 v[11:12], v[11:12], v[25:26], v[11:12]
	v_mul_f64 v[25:26], v[23:24], v[11:12]
	v_fma_f64 v[9:10], -v[9:10], v[25:26], v[23:24]
	v_div_fmas_f64 v[9:10], v[9:10], v[11:12], v[25:26]
	v_div_fixup_f64 v[9:10], v[9:10], -v[7:8], v[5:6]
	v_fma_f64 v[5:6], v[5:6], v[9:10], -v[7:8]
	v_div_scale_f64 v[7:8], s[42:43], v[5:6], v[5:6], 1.0
	v_rcp_f64_e32 v[11:12], v[7:8]
	v_fma_f64 v[23:24], -v[7:8], v[11:12], 1.0
	v_fma_f64 v[11:12], v[11:12], v[23:24], v[11:12]
	v_div_scale_f64 v[23:24], vcc, 1.0, v[5:6], 1.0
	v_fma_f64 v[25:26], -v[7:8], v[11:12], 1.0
	v_fma_f64 v[11:12], v[11:12], v[25:26], v[11:12]
	v_mul_f64 v[25:26], v[23:24], v[11:12]
	v_fma_f64 v[7:8], -v[7:8], v[25:26], v[23:24]
	v_div_fmas_f64 v[7:8], v[7:8], v[11:12], v[25:26]
	v_fma_f64 v[11:12], v[9:10], v[1:2], v[3:4]
	v_fma_f64 v[1:2], v[9:10], v[3:4], -v[1:2]
	v_div_fixup_f64 v[5:6], v[7:8], v[5:6], 1.0
	v_mul_f64 v[9:10], v[11:12], v[5:6]
	v_mul_f64 v[11:12], v[5:6], v[1:2]
                                        ; implicit-def: $vgpr5_vgpr6
                                        ; implicit-def: $vgpr3_vgpr4
.LBB14_14:                              ;   in Loop: Header=BB14_10 Depth=2
	s_andn2_saveexec_b64 s[36:37], s[36:37]
	s_cbranch_execz .LBB14_16
; %bb.15:                               ;   in Loop: Header=BB14_10 Depth=2
	v_div_scale_f64 v[9:10], s[42:43], v[5:6], v[5:6], -v[7:8]
	v_rcp_f64_e32 v[11:12], v[9:10]
	v_fma_f64 v[23:24], -v[9:10], v[11:12], 1.0
	v_fma_f64 v[11:12], v[11:12], v[23:24], v[11:12]
	v_div_scale_f64 v[23:24], vcc, -v[7:8], v[5:6], -v[7:8]
	v_fma_f64 v[25:26], -v[9:10], v[11:12], 1.0
	v_fma_f64 v[11:12], v[11:12], v[25:26], v[11:12]
	v_mul_f64 v[25:26], v[23:24], v[11:12]
	v_fma_f64 v[9:10], -v[9:10], v[25:26], v[23:24]
	v_div_fmas_f64 v[9:10], v[9:10], v[11:12], v[25:26]
	v_div_fixup_f64 v[9:10], v[9:10], v[5:6], -v[7:8]
	v_fma_f64 v[5:6], -v[7:8], v[9:10], v[5:6]
	v_div_scale_f64 v[7:8], s[42:43], v[5:6], v[5:6], 1.0
	v_rcp_f64_e32 v[11:12], v[7:8]
	v_fma_f64 v[23:24], -v[7:8], v[11:12], 1.0
	v_fma_f64 v[11:12], v[11:12], v[23:24], v[11:12]
	v_div_scale_f64 v[23:24], vcc, 1.0, v[5:6], 1.0
	v_fma_f64 v[25:26], -v[7:8], v[11:12], 1.0
	v_fma_f64 v[11:12], v[11:12], v[25:26], v[11:12]
	v_mul_f64 v[25:26], v[23:24], v[11:12]
	v_fma_f64 v[7:8], -v[7:8], v[25:26], v[23:24]
	v_div_fmas_f64 v[7:8], v[7:8], v[11:12], v[25:26]
	v_fma_f64 v[11:12], v[9:10], v[3:4], v[1:2]
	v_fma_f64 v[1:2], -v[9:10], v[1:2], v[3:4]
	v_div_fixup_f64 v[5:6], v[7:8], v[5:6], 1.0
	v_mul_f64 v[9:10], v[5:6], v[11:12]
	v_mul_f64 v[11:12], v[1:2], v[5:6]
.LBB14_16:                              ;   in Loop: Header=BB14_10 Depth=2
	s_or_b64 exec, exec, s[36:37]
	ds_write_b128 v15, v[9:12]
.LBB14_17:                              ;   in Loop: Header=BB14_10 Depth=2
	s_or_b64 exec, exec, s[2:3]
	v_cmp_gt_u32_e32 vcc, s39, v0
	v_cmp_le_i32_e64 s[2:3], s41, v20
	s_and_b64 s[36:37], s[34:35], vcc
	s_and_b64 s[36:37], s[36:37], s[2:3]
	s_waitcnt lgkmcnt(0)
	s_barrier
	s_and_saveexec_b64 s[2:3], s[36:37]
	s_cbranch_execz .LBB14_8
; %bb.18:                               ;   in Loop: Header=BB14_10 Depth=2
	v_lshlrev_b64 v[1:2], 4, v[13:14]
	v_mov_b32_e32 v5, s40
	v_add_co_u32_e32 v1, vcc, v21, v1
	v_addc_co_u32_e32 v2, vcc, v22, v2, vcc
	flat_load_dwordx4 v[1:4], v[1:2]
	ds_read_b128 v[5:8], v5
	s_waitcnt vmcnt(0) lgkmcnt(0)
	v_mul_f64 v[9:10], v[3:4], v[7:8]
	v_mul_f64 v[3:4], v[3:4], v[5:6]
	v_fma_f64 v[5:6], v[1:2], v[5:6], v[9:10]
	v_fma_f64 v[7:8], v[1:2], v[7:8], -v[3:4]
	ds_read_b128 v[1:4], v15
	s_waitcnt lgkmcnt(0)
	v_add_f64 v[1:2], v[1:2], -v[5:6]
	v_add_f64 v[3:4], v[3:4], -v[7:8]
	ds_write_b128 v15, v[1:4]
	s_branch .LBB14_8
.LBB14_19:                              ;   in Loop: Header=BB14_5 Depth=1
	s_add_i32 s45, s38, 0xfffffe00
	s_cmp_lt_i32 s38, 1
	s_cselect_b64 s[2:3], -1, 0
	s_and_b64 vcc, exec, s[2:3]
	s_waitcnt lgkmcnt(0)
	s_barrier
	s_cbranch_vccnz .LBB14_39
; %bb.20:                               ;   in Loop: Header=BB14_5 Depth=1
	v_mad_i64_i32 v[1:2], s[34:35], v17, -16, s[26:27]
	s_mov_b64 s[34:35], 0
	v_mov_b32_e32 v9, v17
	v_mov_b32_e32 v10, v0
	s_mov_b32 s46, s45
                                        ; implicit-def: $sgpr36_sgpr37
	s_branch .LBB14_23
.LBB14_21:                              ;   in Loop: Header=BB14_23 Depth=2
	v_mad_u64_u32 v[7:8], s[40:41], s6, v11, 0
	s_add_i32 s42, s46, 0xfffffe00
	s_cmp_lt_i32 s46, 1
	v_mad_u64_u32 v[11:12], s[40:41], s7, v11, v[8:9]
	v_mov_b32_e32 v12, s33
	s_cselect_b64 s[40:41], -1, 0
	v_mov_b32_e32 v8, v11
	v_lshlrev_b64 v[7:8], 4, v[7:8]
	s_andn2_b64 s[36:37], s[36:37], exec
	v_add_co_u32_e32 v11, vcc, s8, v7
	v_addc_co_u32_e32 v12, vcc, v12, v8, vcc
	flat_load_dwordx4 v[20:23], v[11:12]
	v_add_co_u32_e32 v1, vcc, 0x2000, v1
	s_and_b64 s[40:41], s[40:41], exec
	v_add_u32_e32 v9, 0xfffffe00, v9
	v_addc_co_u32_e32 v2, vcc, 0, v2, vcc
	s_or_b64 s[36:37], s[36:37], s[40:41]
	s_mov_b32 s46, s42
	s_waitcnt vmcnt(0) lgkmcnt(0)
	v_add_f64 v[5:6], v[20:21], -v[5:6]
	v_add_f64 v[7:8], v[22:23], -v[3:4]
	flat_store_dwordx4 v[11:12], v[5:8]
.LBB14_22:                              ;   in Loop: Header=BB14_23 Depth=2
	s_or_b64 exec, exec, s[38:39]
	s_and_b64 s[38:39], exec, s[36:37]
	s_or_b64 s[34:35], s[38:39], s[34:35]
	s_andn2_b64 exec, exec, s[34:35]
	s_cbranch_execz .LBB14_38
.LBB14_23:                              ;   Parent Loop BB14_5 Depth=1
                                        ; =>  This Loop Header: Depth=2
                                        ;       Child Loop BB14_26 Depth 3
	v_add_u32_e32 v11, s46, v0
	v_cmp_lt_i32_e32 vcc, -1, v11
	s_or_b64 s[36:37], s[36:37], exec
	s_and_saveexec_b64 s[38:39], vcc
	s_cbranch_execz .LBB14_22
; %bb.24:                               ;   in Loop: Header=BB14_23 Depth=2
	v_mad_u64_u32 v[7:8], s[40:41], s28, v9, v[1:2]
	v_add_u32_e32 v12, s10, v11
	v_add_u32_e32 v13, 0xfffffdff, v10
	v_mov_b32_e32 v3, v8
	v_mad_u64_u32 v[5:6], s[40:41], s29, v9, v[3:4]
	v_mov_b32_e32 v3, 0
	v_add_u32_e32 v10, 0xfffffe00, v10
	v_mov_b32_e32 v8, v5
	v_mov_b32_e32 v5, 0
	;; [unrolled: 1-line block ×3, first 2 shown]
	s_mov_b32 s47, 0
	v_mov_b32_e32 v6, 0
	s_movk_i32 s48, 0x6000
	s_branch .LBB14_26
.LBB14_25:                              ;   in Loop: Header=BB14_26 Depth=3
	s_or_b64 exec, exec, s[40:41]
	s_add_i32 s47, s47, 2
	s_add_i32 s48, s48, 32
	v_add_co_u32_e32 v7, vcc, 32, v7
	s_cmpk_eq_i32 s47, 0x200
	v_addc_co_u32_e32 v8, vcc, 0, v8, vcc
	s_cbranch_scc1 .LBB14_21
.LBB14_26:                              ;   Parent Loop BB14_5 Depth=1
                                        ;     Parent Loop BB14_23 Depth=2
                                        ; =>    This Inner Loop Header: Depth=3
	v_cmp_ne_u32_e32 vcc, s47, v10
	s_add_i32 s49, s44, s47
	s_or_b64 s[40:41], s[30:31], vcc
	s_and_saveexec_b64 s[42:43], s[40:41]
	s_xor_b64 s[40:41], exec, s[42:43]
	s_cbranch_execz .LBB14_30
; %bb.27:                               ;   in Loop: Header=BB14_26 Depth=3
	s_add_i32 s42, s49, 0xfffffe00
	v_cmp_le_i32_e32 vcc, s42, v12
	s_and_saveexec_b64 s[42:43], vcc
	s_cbranch_execz .LBB14_29
; %bb.28:                               ;   in Loop: Header=BB14_26 Depth=3
	flat_load_dwordx4 v[20:23], v[7:8]
	v_mov_b32_e32 v24, s48
	ds_read_b128 v[24:27], v24
	s_waitcnt vmcnt(0) lgkmcnt(0)
	v_mul_f64 v[28:29], v[22:23], v[26:27]
	v_mul_f64 v[22:23], v[22:23], v[24:25]
	v_fma_f64 v[24:25], v[20:21], v[24:25], v[28:29]
	v_fma_f64 v[20:21], v[20:21], v[26:27], -v[22:23]
	v_add_f64 v[5:6], v[5:6], v[24:25]
	v_add_f64 v[3:4], v[3:4], v[20:21]
.LBB14_29:                              ;   in Loop: Header=BB14_26 Depth=3
	s_or_b64 exec, exec, s[42:43]
.LBB14_30:                              ;   in Loop: Header=BB14_26 Depth=3
	s_andn2_saveexec_b64 s[40:41], s[40:41]
	s_cbranch_execz .LBB14_32
; %bb.31:                               ;   in Loop: Header=BB14_26 Depth=3
	v_mov_b32_e32 v20, s48
	ds_read_b128 v[20:23], v20
	s_waitcnt lgkmcnt(0)
	v_add_f64 v[5:6], v[5:6], v[20:21]
	v_add_f64 v[3:4], v[3:4], v[22:23]
.LBB14_32:                              ;   in Loop: Header=BB14_26 Depth=3
	s_or_b64 exec, exec, s[40:41]
	v_cmp_ne_u32_e32 vcc, s47, v13
	s_or_b64 s[40:41], s[30:31], vcc
	s_and_saveexec_b64 s[42:43], s[40:41]
	s_xor_b64 s[40:41], exec, s[42:43]
	s_cbranch_execz .LBB14_36
; %bb.33:                               ;   in Loop: Header=BB14_26 Depth=3
	s_addk_i32 s49, 0xfe01
	v_cmp_le_i32_e32 vcc, s49, v12
	s_and_saveexec_b64 s[42:43], vcc
	s_cbranch_execz .LBB14_35
; %bb.34:                               ;   in Loop: Header=BB14_26 Depth=3
	flat_load_dwordx4 v[20:23], v[7:8] offset:16
	v_mov_b32_e32 v24, s48
	ds_read_b128 v[24:27], v24 offset:16
	s_waitcnt vmcnt(0) lgkmcnt(0)
	v_mul_f64 v[28:29], v[22:23], v[26:27]
	v_mul_f64 v[22:23], v[22:23], v[24:25]
	v_fma_f64 v[24:25], v[20:21], v[24:25], v[28:29]
	v_fma_f64 v[20:21], v[20:21], v[26:27], -v[22:23]
	v_add_f64 v[5:6], v[5:6], v[24:25]
	v_add_f64 v[3:4], v[3:4], v[20:21]
.LBB14_35:                              ;   in Loop: Header=BB14_26 Depth=3
	s_or_b64 exec, exec, s[42:43]
.LBB14_36:                              ;   in Loop: Header=BB14_26 Depth=3
	s_andn2_saveexec_b64 s[40:41], s[40:41]
	s_cbranch_execz .LBB14_25
; %bb.37:                               ;   in Loop: Header=BB14_26 Depth=3
	v_mov_b32_e32 v20, s48
	ds_read_b128 v[20:23], v20 offset:16
	s_waitcnt lgkmcnt(0)
	v_add_f64 v[5:6], v[5:6], v[20:21]
	v_add_f64 v[3:4], v[3:4], v[22:23]
	s_branch .LBB14_25
.LBB14_38:                              ;   in Loop: Header=BB14_5 Depth=1
	s_or_b64 exec, exec, s[34:35]
.LBB14_39:                              ;   in Loop: Header=BB14_5 Depth=1
	s_and_saveexec_b64 s[34:35], s[0:1]
	s_cbranch_execz .LBB14_4
; %bb.40:                               ;   in Loop: Header=BB14_5 Depth=1
	v_mad_u64_u32 v[5:6], s[0:1], s6, v19, 0
	v_mov_b32_e32 v1, v6
	v_mad_u64_u32 v[6:7], s[0:1], s7, v19, v[1:2]
	ds_read2_b64 v[1:4], v15 offset1:1
	v_mov_b32_e32 v7, s33
	v_lshlrev_b64 v[5:6], 4, v[5:6]
	v_add_co_u32_e32 v5, vcc, s8, v5
	v_addc_co_u32_e32 v6, vcc, v7, v6, vcc
	s_waitcnt lgkmcnt(0)
	flat_store_dwordx4 v[5:6], v[1:4]
	s_branch .LBB14_4
.LBB14_41:
	s_mov_b64 s[0:1], 0
.LBB14_42:
	s_andn2_b64 vcc, exec, s[0:1]
	s_cbranch_vccnz .LBB14_82
; %bb.43:
	s_andn2_b64 vcc, exec, s[22:23]
	s_cbranch_vccnz .LBB14_82
; %bb.44:
	s_ashr_i32 s11, s10, 31
	s_lshl_b64 s[26:27], s[16:17], 4
	s_add_u32 s28, s26, -16
	s_addc_u32 s30, s27, -1
	s_lshl_b64 s[0:1], s[10:11], 4
	s_add_u32 s2, s12, s0
	s_addc_u32 s3, s13, s1
	s_add_u32 s2, s2, s20
	s_addc_u32 s3, s3, s21
	v_mov_b32_e32 v1, s2
	v_mov_b32_e32 v2, s3
	v_mad_u64_u32 v[13:14], s[28:29], s28, v0, v[1:2]
	v_mov_b32_e32 v1, 0x2000
	v_lshl_or_b32 v21, v0, 4, v1
	v_mov_b32_e32 v1, v14
	v_mad_u64_u32 v[1:2], s[28:29], s30, v0, v[1:2]
	v_or_b32_e32 v22, 0x200, v0
	v_mad_u64_u32 v[2:3], s[28:29], s16, v22, 0
	v_mov_b32_e32 v14, v1
	s_lshl_b64 s[28:29], s[16:17], 13
	v_mov_b32_e32 v1, v3
	s_add_u32 s0, s20, s0
	v_mad_u64_u32 v[3:4], s[30:31], s17, v22, v[1:2]
	s_addc_u32 s1, s21, s1
	s_add_u32 s30, s12, s0
	s_addc_u32 s31, s13, s1
	v_lshlrev_b64 v[1:2], 4, v[2:3]
	s_add_u32 s11, s28, 0x2000
	s_addc_u32 s46, s29, 0
	v_mov_b32_e32 v3, s3
	v_add_co_u32_e32 v15, vcc, s2, v1
	s_add_u32 s47, s28, 0xffffe000
	v_addc_co_u32_e32 v16, vcc, v3, v2, vcc
	s_addc_u32 s48, s29, -1
	s_mov_b32 s49, 0
	s_xor_b64 s[34:35], s[18:19], -1
	s_branch .LBB14_46
.LBB14_45:                              ;   in Loop: Header=BB14_46 Depth=1
	s_or_b64 exec, exec, s[36:37]
	v_mov_b32_e32 v1, s29
	v_add_co_u32_e32 v13, vcc, s28, v13
	v_addc_co_u32_e32 v14, vcc, v14, v1, vcc
	v_mov_b32_e32 v1, s46
	v_add_co_u32_e32 v15, vcc, s11, v15
	s_add_u32 s30, s30, s28
	v_addc_co_u32_e32 v16, vcc, v16, v1, vcc
	s_addc_u32 s31, s31, s29
	v_add_u32_e32 v22, 0x200, v22
	s_and_b64 vcc, exec, s[2:3]
	s_mov_b32 s49, s50
	s_waitcnt vmcnt(0) lgkmcnt(0)
	s_barrier
	s_cbranch_vccnz .LBB14_82
.LBB14_46:                              ; =>This Loop Header: Depth=1
                                        ;     Child Loop BB14_51 Depth 2
                                        ;     Child Loop BB14_64 Depth 2
                                        ;       Child Loop BB14_67 Depth 3
	v_add_u32_e32 v23, s49, v0
	v_cmp_le_i32_e32 vcc, s9, v23
	v_cmp_gt_i32_e64 s[0:1], s9, v23
	s_and_saveexec_b64 s[36:37], s[0:1]
	s_cbranch_execz .LBB14_48
; %bb.47:                               ;   in Loop: Header=BB14_46 Depth=1
	v_mad_u64_u32 v[1:2], s[2:3], s6, v23, 0
	v_mad_u64_u32 v[2:3], s[2:3], s7, v23, v[2:3]
	v_mov_b32_e32 v3, s33
	v_lshlrev_b64 v[1:2], 4, v[1:2]
	v_add_co_u32_e64 v1, s[2:3], s8, v1
	v_addc_co_u32_e64 v2, s[2:3], v3, v2, s[2:3]
	flat_load_dwordx4 v[1:4], v[1:2]
	s_waitcnt vmcnt(0) lgkmcnt(0)
	ds_write2_b64 v21, v[1:2], v[3:4] offset1:1
.LBB14_48:                              ;   in Loop: Header=BB14_46 Depth=1
	s_or_b64 exec, exec, s[36:37]
	v_mov_b32_e32 v17, s30
	v_mov_b32_e32 v20, v14
	v_subrev_u32_e32 v24, s10, v23
	s_mov_b32 s40, 0
	s_movk_i32 s41, 0x2000
	v_mov_b32_e32 v18, s31
	s_xor_b64 s[36:37], vcc, -1
	v_mov_b32_e32 v19, v13
	s_waitcnt lgkmcnt(0)
	s_barrier
	s_branch .LBB14_51
.LBB14_49:                              ;   in Loop: Header=BB14_51 Depth=2
	s_or_b64 exec, exec, s[2:3]
	v_add_co_u32_e32 v19, vcc, 16, v19
	s_add_i32 s40, s40, 1
	s_add_i32 s41, s41, 16
	v_addc_co_u32_e32 v20, vcc, 0, v20, vcc
	v_mov_b32_e32 v1, s27
	v_add_co_u32_e32 v17, vcc, s26, v17
	s_cmpk_eq_i32 s40, 0x200
	v_addc_co_u32_e32 v18, vcc, v18, v1, vcc
	s_cselect_b64 s[2:3], -1, 0
.LBB14_50:                              ;   in Loop: Header=BB14_51 Depth=2
	s_and_b64 vcc, exec, s[2:3]
	s_cbranch_vccnz .LBB14_60
.LBB14_51:                              ;   Parent Loop BB14_46 Depth=1
                                        ; =>  This Inner Loop Header: Depth=2
	s_add_i32 s42, s49, s40
	s_cmp_ge_i32 s42, s9
	s_mov_b64 s[2:3], -1
	s_cbranch_scc1 .LBB14_50
; %bb.52:                               ;   in Loop: Header=BB14_51 Depth=2
	v_cmp_eq_u32_e32 vcc, s40, v0
	s_and_b64 s[38:39], s[34:35], vcc
	s_and_saveexec_b64 s[2:3], s[38:39]
	s_cbranch_execz .LBB14_58
; %bb.53:                               ;   in Loop: Header=BB14_51 Depth=2
	flat_load_dwordx4 v[5:8], v[17:18]
	ds_read_b128 v[1:4], v21
                                        ; implicit-def: $vgpr9_vgpr10
	s_waitcnt vmcnt(0) lgkmcnt(0)
	v_cmp_ngt_f64_e64 s[38:39], |v[5:6]|, |v[7:8]|
	s_and_saveexec_b64 s[44:45], s[38:39]
	s_xor_b64 s[38:39], exec, s[44:45]
	s_cbranch_execz .LBB14_55
; %bb.54:                               ;   in Loop: Header=BB14_51 Depth=2
	v_div_scale_f64 v[9:10], s[44:45], -v[7:8], -v[7:8], v[5:6]
	v_rcp_f64_e32 v[11:12], v[9:10]
	v_fma_f64 v[25:26], -v[9:10], v[11:12], 1.0
	v_fma_f64 v[11:12], v[11:12], v[25:26], v[11:12]
	v_div_scale_f64 v[25:26], vcc, v[5:6], -v[7:8], v[5:6]
	v_fma_f64 v[27:28], -v[9:10], v[11:12], 1.0
	v_fma_f64 v[11:12], v[11:12], v[27:28], v[11:12]
	v_mul_f64 v[27:28], v[25:26], v[11:12]
	v_fma_f64 v[9:10], -v[9:10], v[27:28], v[25:26]
	v_div_fmas_f64 v[9:10], v[9:10], v[11:12], v[27:28]
	v_div_fixup_f64 v[9:10], v[9:10], -v[7:8], v[5:6]
	v_fma_f64 v[5:6], v[5:6], v[9:10], -v[7:8]
	v_div_scale_f64 v[7:8], s[44:45], v[5:6], v[5:6], 1.0
	v_rcp_f64_e32 v[11:12], v[7:8]
	v_fma_f64 v[25:26], -v[7:8], v[11:12], 1.0
	v_fma_f64 v[11:12], v[11:12], v[25:26], v[11:12]
	v_div_scale_f64 v[25:26], vcc, 1.0, v[5:6], 1.0
	v_fma_f64 v[27:28], -v[7:8], v[11:12], 1.0
	v_fma_f64 v[11:12], v[11:12], v[27:28], v[11:12]
	v_mul_f64 v[27:28], v[25:26], v[11:12]
	v_fma_f64 v[7:8], -v[7:8], v[27:28], v[25:26]
	v_div_fmas_f64 v[7:8], v[7:8], v[11:12], v[27:28]
	v_fma_f64 v[11:12], v[9:10], v[1:2], v[3:4]
	v_fma_f64 v[1:2], v[9:10], v[3:4], -v[1:2]
	v_div_fixup_f64 v[5:6], v[7:8], v[5:6], 1.0
	v_mul_f64 v[9:10], v[11:12], v[5:6]
	v_mul_f64 v[11:12], v[5:6], v[1:2]
                                        ; implicit-def: $vgpr5_vgpr6
                                        ; implicit-def: $vgpr3_vgpr4
.LBB14_55:                              ;   in Loop: Header=BB14_51 Depth=2
	s_andn2_saveexec_b64 s[38:39], s[38:39]
	s_cbranch_execz .LBB14_57
; %bb.56:                               ;   in Loop: Header=BB14_51 Depth=2
	v_div_scale_f64 v[9:10], s[44:45], v[5:6], v[5:6], -v[7:8]
	v_rcp_f64_e32 v[11:12], v[9:10]
	v_fma_f64 v[25:26], -v[9:10], v[11:12], 1.0
	v_fma_f64 v[11:12], v[11:12], v[25:26], v[11:12]
	v_div_scale_f64 v[25:26], vcc, -v[7:8], v[5:6], -v[7:8]
	v_fma_f64 v[27:28], -v[9:10], v[11:12], 1.0
	v_fma_f64 v[11:12], v[11:12], v[27:28], v[11:12]
	v_mul_f64 v[27:28], v[25:26], v[11:12]
	v_fma_f64 v[9:10], -v[9:10], v[27:28], v[25:26]
	v_div_fmas_f64 v[9:10], v[9:10], v[11:12], v[27:28]
	v_div_fixup_f64 v[9:10], v[9:10], v[5:6], -v[7:8]
	v_fma_f64 v[5:6], -v[7:8], v[9:10], v[5:6]
	v_div_scale_f64 v[7:8], s[44:45], v[5:6], v[5:6], 1.0
	v_rcp_f64_e32 v[11:12], v[7:8]
	v_fma_f64 v[25:26], -v[7:8], v[11:12], 1.0
	v_fma_f64 v[11:12], v[11:12], v[25:26], v[11:12]
	v_div_scale_f64 v[25:26], vcc, 1.0, v[5:6], 1.0
	v_fma_f64 v[27:28], -v[7:8], v[11:12], 1.0
	v_fma_f64 v[11:12], v[11:12], v[27:28], v[11:12]
	v_mul_f64 v[27:28], v[25:26], v[11:12]
	v_fma_f64 v[7:8], -v[7:8], v[27:28], v[25:26]
	v_div_fmas_f64 v[7:8], v[7:8], v[11:12], v[27:28]
	v_fma_f64 v[11:12], v[9:10], v[3:4], v[1:2]
	v_fma_f64 v[1:2], -v[9:10], v[1:2], v[3:4]
	v_div_fixup_f64 v[5:6], v[7:8], v[5:6], 1.0
	v_mul_f64 v[9:10], v[5:6], v[11:12]
	v_mul_f64 v[11:12], v[1:2], v[5:6]
.LBB14_57:                              ;   in Loop: Header=BB14_51 Depth=2
	s_or_b64 exec, exec, s[38:39]
	ds_write_b128 v21, v[9:12]
.LBB14_58:                              ;   in Loop: Header=BB14_51 Depth=2
	s_or_b64 exec, exec, s[2:3]
	v_cmp_lt_u32_e32 vcc, s40, v0
	v_cmp_ge_i32_e64 s[2:3], s42, v24
	s_and_b64 s[38:39], s[36:37], vcc
	s_and_b64 s[38:39], s[38:39], s[2:3]
	s_waitcnt lgkmcnt(0)
	s_barrier
	s_and_saveexec_b64 s[2:3], s[38:39]
	s_cbranch_execz .LBB14_49
; %bb.59:                               ;   in Loop: Header=BB14_51 Depth=2
	flat_load_dwordx4 v[1:4], v[19:20]
	v_mov_b32_e32 v5, s41
	ds_read_b128 v[5:8], v5
	s_waitcnt vmcnt(0) lgkmcnt(0)
	v_mul_f64 v[9:10], v[3:4], v[7:8]
	v_mul_f64 v[3:4], v[3:4], v[5:6]
	v_fma_f64 v[5:6], v[1:2], v[5:6], v[9:10]
	v_fma_f64 v[7:8], v[1:2], v[7:8], -v[3:4]
	ds_read_b128 v[1:4], v21
	s_waitcnt lgkmcnt(0)
	v_add_f64 v[1:2], v[1:2], -v[5:6]
	v_add_f64 v[3:4], v[3:4], -v[7:8]
	ds_write_b128 v21, v[1:4]
	s_branch .LBB14_49
.LBB14_60:                              ;   in Loop: Header=BB14_46 Depth=1
	s_add_i32 s50, s49, 0x200
	s_cmp_ge_i32 s50, s9
	s_cselect_b64 s[2:3], -1, 0
	s_and_b64 vcc, exec, s[2:3]
	s_waitcnt lgkmcnt(0)
	s_barrier
	s_cbranch_vccnz .LBB14_80
; %bb.61:                               ;   in Loop: Header=BB14_46 Depth=1
	v_mad_i64_i32 v[1:2], s[36:37], v22, -16, v[15:16]
	s_mov_b64 s[36:37], 0
	v_mov_b32_e32 v9, v0
	s_mov_b32 s51, s50
                                        ; implicit-def: $sgpr38_sgpr39
	s_branch .LBB14_64
.LBB14_62:                              ;   in Loop: Header=BB14_64 Depth=2
	v_mad_u64_u32 v[7:8], s[42:43], s6, v10, 0
	s_addk_i32 s51, 0x200
	s_cmp_ge_i32 s51, s9
	v_mad_u64_u32 v[10:11], s[42:43], s7, v10, v[8:9]
	v_mov_b32_e32 v11, s33
	s_cselect_b64 s[42:43], -1, 0
	v_mov_b32_e32 v8, v10
	v_lshlrev_b64 v[7:8], 4, v[7:8]
	v_mov_b32_e32 v12, s48
	v_add_co_u32_e32 v10, vcc, s8, v7
	v_addc_co_u32_e32 v11, vcc, v11, v8, vcc
	flat_load_dwordx4 v[17:20], v[10:11]
	v_add_co_u32_e32 v1, vcc, s47, v1
	s_andn2_b64 s[38:39], s[38:39], exec
	s_and_b64 s[42:43], s[42:43], exec
	v_addc_co_u32_e32 v2, vcc, v2, v12, vcc
	s_or_b64 s[38:39], s[38:39], s[42:43]
	s_waitcnt vmcnt(0) lgkmcnt(0)
	v_add_f64 v[5:6], v[17:18], -v[5:6]
	v_add_f64 v[7:8], v[19:20], -v[3:4]
	flat_store_dwordx4 v[10:11], v[5:8]
.LBB14_63:                              ;   in Loop: Header=BB14_64 Depth=2
	s_or_b64 exec, exec, s[40:41]
	s_and_b64 s[40:41], exec, s[38:39]
	s_or_b64 s[36:37], s[40:41], s[36:37]
	s_andn2_b64 exec, exec, s[36:37]
	s_cbranch_execz .LBB14_79
.LBB14_64:                              ;   Parent Loop BB14_46 Depth=1
                                        ; =>  This Loop Header: Depth=2
                                        ;       Child Loop BB14_67 Depth 3
	v_add_u32_e32 v10, s51, v0
	v_cmp_gt_i32_e32 vcc, s9, v10
	s_or_b64 s[38:39], s[38:39], exec
	s_and_saveexec_b64 s[40:41], vcc
	s_cbranch_execz .LBB14_63
; %bb.65:                               ;   in Loop: Header=BB14_64 Depth=2
	v_mov_b32_e32 v3, 0
	v_mov_b32_e32 v5, 0
	;; [unrolled: 1-line block ×3, first 2 shown]
	v_subrev_u32_e32 v11, s10, v10
	v_add_u32_e32 v12, 0x1ff, v9
	v_add_u32_e32 v9, 0x200, v9
	v_mov_b32_e32 v4, 0
	s_mov_b32 s52, 0
	s_movk_i32 s53, 0x2000
	v_mov_b32_e32 v6, 0
	v_mov_b32_e32 v7, v1
	s_branch .LBB14_67
.LBB14_66:                              ;   in Loop: Header=BB14_67 Depth=3
	s_or_b64 exec, exec, s[42:43]
	s_add_i32 s52, s52, 2
	s_add_i32 s53, s53, 32
	v_add_co_u32_e32 v7, vcc, 32, v7
	s_cmpk_eq_i32 s52, 0x200
	v_addc_co_u32_e32 v8, vcc, 0, v8, vcc
	s_cbranch_scc1 .LBB14_62
.LBB14_67:                              ;   Parent Loop BB14_46 Depth=1
                                        ;     Parent Loop BB14_64 Depth=2
                                        ; =>    This Inner Loop Header: Depth=3
	v_cmp_ne_u32_e32 vcc, s52, v9
	s_add_i32 s54, s49, s52
	s_or_b64 s[42:43], s[34:35], vcc
	s_and_saveexec_b64 s[44:45], s[42:43]
	s_xor_b64 s[42:43], exec, s[44:45]
	s_cbranch_execz .LBB14_71
; %bb.68:                               ;   in Loop: Header=BB14_67 Depth=3
	s_cmp_lt_i32 s54, s9
	s_cselect_b64 s[44:45], -1, 0
	v_cmp_ge_i32_e32 vcc, s54, v11
	s_and_b64 s[56:57], s[44:45], vcc
	s_and_saveexec_b64 s[44:45], s[56:57]
	s_cbranch_execz .LBB14_70
; %bb.69:                               ;   in Loop: Header=BB14_67 Depth=3
	flat_load_dwordx4 v[17:20], v[7:8]
	v_mov_b32_e32 v24, s53
	ds_read_b128 v[24:27], v24
	s_waitcnt vmcnt(0) lgkmcnt(0)
	v_mul_f64 v[28:29], v[19:20], v[26:27]
	v_mul_f64 v[19:20], v[19:20], v[24:25]
	v_fma_f64 v[24:25], v[17:18], v[24:25], v[28:29]
	v_fma_f64 v[17:18], v[17:18], v[26:27], -v[19:20]
	v_add_f64 v[5:6], v[5:6], v[24:25]
	v_add_f64 v[3:4], v[3:4], v[17:18]
.LBB14_70:                              ;   in Loop: Header=BB14_67 Depth=3
	s_or_b64 exec, exec, s[44:45]
.LBB14_71:                              ;   in Loop: Header=BB14_67 Depth=3
	s_andn2_saveexec_b64 s[42:43], s[42:43]
	s_cbranch_execz .LBB14_73
; %bb.72:                               ;   in Loop: Header=BB14_67 Depth=3
	v_mov_b32_e32 v17, s53
	ds_read_b128 v[17:20], v17
	s_waitcnt lgkmcnt(0)
	v_add_f64 v[5:6], v[5:6], v[17:18]
	v_add_f64 v[3:4], v[3:4], v[19:20]
.LBB14_73:                              ;   in Loop: Header=BB14_67 Depth=3
	s_or_b64 exec, exec, s[42:43]
	v_cmp_ne_u32_e32 vcc, s52, v12
	s_or_b64 s[42:43], s[34:35], vcc
	s_and_saveexec_b64 s[44:45], s[42:43]
	s_xor_b64 s[42:43], exec, s[44:45]
	s_cbranch_execz .LBB14_77
; %bb.74:                               ;   in Loop: Header=BB14_67 Depth=3
	s_add_i32 s54, s54, 1
	s_cmp_lt_i32 s54, s9
	s_cselect_b64 s[44:45], -1, 0
	v_cmp_ge_i32_e32 vcc, s54, v11
	s_and_b64 s[54:55], s[44:45], vcc
	s_and_saveexec_b64 s[44:45], s[54:55]
	s_cbranch_execz .LBB14_76
; %bb.75:                               ;   in Loop: Header=BB14_67 Depth=3
	flat_load_dwordx4 v[17:20], v[7:8] offset:16
	v_mov_b32_e32 v24, s53
	ds_read_b128 v[24:27], v24 offset:16
	s_waitcnt vmcnt(0) lgkmcnt(0)
	v_mul_f64 v[28:29], v[19:20], v[26:27]
	v_mul_f64 v[19:20], v[19:20], v[24:25]
	v_fma_f64 v[24:25], v[17:18], v[24:25], v[28:29]
	v_fma_f64 v[17:18], v[17:18], v[26:27], -v[19:20]
	v_add_f64 v[5:6], v[5:6], v[24:25]
	v_add_f64 v[3:4], v[3:4], v[17:18]
.LBB14_76:                              ;   in Loop: Header=BB14_67 Depth=3
	s_or_b64 exec, exec, s[44:45]
.LBB14_77:                              ;   in Loop: Header=BB14_67 Depth=3
	s_andn2_saveexec_b64 s[42:43], s[42:43]
	s_cbranch_execz .LBB14_66
; %bb.78:                               ;   in Loop: Header=BB14_67 Depth=3
	v_mov_b32_e32 v17, s53
	ds_read_b128 v[17:20], v17 offset:16
	s_waitcnt lgkmcnt(0)
	v_add_f64 v[5:6], v[5:6], v[17:18]
	v_add_f64 v[3:4], v[3:4], v[19:20]
	s_branch .LBB14_66
.LBB14_79:                              ;   in Loop: Header=BB14_46 Depth=1
	s_or_b64 exec, exec, s[36:37]
.LBB14_80:                              ;   in Loop: Header=BB14_46 Depth=1
	s_and_saveexec_b64 s[36:37], s[0:1]
	s_cbranch_execz .LBB14_45
; %bb.81:                               ;   in Loop: Header=BB14_46 Depth=1
	v_mad_u64_u32 v[5:6], s[0:1], s6, v23, 0
	v_mov_b32_e32 v1, v6
	v_mad_u64_u32 v[6:7], s[0:1], s7, v23, v[1:2]
	ds_read2_b64 v[1:4], v21 offset1:1
	v_mov_b32_e32 v7, s33
	v_lshlrev_b64 v[5:6], 4, v[5:6]
	v_add_co_u32_e32 v5, vcc, s8, v5
	v_addc_co_u32_e32 v6, vcc, v7, v6, vcc
	s_waitcnt lgkmcnt(0)
	flat_store_dwordx4 v[5:6], v[1:4]
	s_branch .LBB14_45
.LBB14_82:
	s_mov_b64 s[0:1], 0
.LBB14_83:
	s_andn2_b64 vcc, exec, s[0:1]
	s_cbranch_vccnz .LBB14_165
; %bb.84:
	s_mov_b64 s[0:1], -1
	s_and_b64 vcc, exec, s[24:25]
	s_cbranch_vccz .LBB14_125
; %bb.85:
	s_andn2_b64 vcc, exec, s[22:23]
	s_cbranch_vccnz .LBB14_124
; %bb.86:
	s_add_u32 s0, s12, s20
	s_addc_u32 s1, s13, s21
	s_add_u32 s24, s0, 8
	s_addc_u32 s25, s1, 0
	s_lshl_b64 s[26:27], s[16:17], 13
	s_lshl_b64 s[28:29], s[16:17], 4
	;; [unrolled: 1-line block ×3, first 2 shown]
	s_add_u32 s30, s12, s28
	s_addc_u32 s31, s13, s29
	s_add_u32 s11, s0, 0xffffffe0
	v_lshlrev_b32_e32 v15, 4, v0
	v_or_b32_e32 v16, 0x200, v0
	s_addc_u32 s60, s1, -1
	s_mov_b32 s61, 0
	s_mov_b64 s[34:35], -1
	s_mov_b64 s[36:37], 0
	s_xor_b64 s[38:39], s[18:19], -1
	v_mov_b32_e32 v14, 0
	s_mov_b64 s[40:41], 0
	s_mov_b64 s[42:43], s[4:5]
	s_branch .LBB14_88
.LBB14_87:                              ;   in Loop: Header=BB14_88 Depth=1
	s_or_b64 exec, exec, s[44:45]
	s_add_u32 s24, s24, s26
	s_addc_u32 s25, s25, s27
	s_add_u32 s42, s42, s26
	s_addc_u32 s43, s43, s27
	s_add_u32 s34, s34, 0xfffffe00
	s_addc_u32 s35, s35, -1
	s_add_u32 s40, s40, s26
	s_addc_u32 s41, s41, s27
	s_add_u32 s36, s36, 0xfffffe00
	v_add_u32_e32 v16, 0x200, v16
	s_addc_u32 s37, s37, -1
	s_and_b64 vcc, exec, s[2:3]
	s_mov_b32 s61, s62
	s_waitcnt vmcnt(0) lgkmcnt(0)
	s_barrier
	s_cbranch_vccnz .LBB14_124
.LBB14_88:                              ; =>This Loop Header: Depth=1
                                        ;     Child Loop BB14_92 Depth 2
                                        ;     Child Loop BB14_106 Depth 2
                                        ;       Child Loop BB14_109 Depth 3
	v_add_u32_e32 v17, s61, v0
	v_cmp_le_i32_e32 vcc, s9, v17
	v_cmp_gt_i32_e64 s[0:1], s9, v17
	s_and_saveexec_b64 s[44:45], s[0:1]
	s_cbranch_execz .LBB14_90
; %bb.89:                               ;   in Loop: Header=BB14_88 Depth=1
	v_mad_u64_u32 v[1:2], s[2:3], s6, v17, 0
	v_mad_u64_u32 v[2:3], s[2:3], s7, v17, v[2:3]
	v_mov_b32_e32 v3, s33
	v_lshlrev_b64 v[1:2], 4, v[1:2]
	v_add_co_u32_e64 v1, s[2:3], s8, v1
	v_addc_co_u32_e64 v2, s[2:3], v3, v2, s[2:3]
	flat_load_dwordx4 v[1:4], v[1:2]
	s_waitcnt vmcnt(0) lgkmcnt(0)
	ds_write2_b64 v15, v[1:2], v[3:4] offset1:1
.LBB14_90:                              ;   in Loop: Header=BB14_88 Depth=1
	s_or_b64 exec, exec, s[44:45]
	v_subrev_u32_e32 v18, s10, v17
	s_mov_b32 s52, 0
	s_xor_b64 s[44:45], vcc, -1
	s_mov_b64 s[46:47], s[42:43]
	s_mov_b64 s[48:49], s[24:25]
	v_mov_b32_e32 v13, v0
	s_mov_b32 s53, 0
	s_waitcnt lgkmcnt(0)
	s_barrier
	s_branch .LBB14_92
.LBB14_91:                              ;   in Loop: Header=BB14_92 Depth=2
                                        ; implicit-def: $sgpr53
                                        ; implicit-def: $sgpr52
                                        ; implicit-def: $sgpr48_sgpr49
                                        ; implicit-def: $sgpr46_sgpr47
	s_cbranch_execnz .LBB14_102
.LBB14_92:                              ;   Parent Loop BB14_88 Depth=1
                                        ; =>  This Inner Loop Header: Depth=2
	s_add_i32 s54, s61, s53
	s_cmp_ge_i32 s54, s9
	s_cbranch_scc1 .LBB14_91
; %bb.93:                               ;   in Loop: Header=BB14_92 Depth=2
	v_cmp_eq_u32_e32 vcc, s53, v0
	s_and_b64 s[50:51], s[38:39], vcc
	s_and_saveexec_b64 s[2:3], s[50:51]
	s_cbranch_execz .LBB14_99
; %bb.94:                               ;   in Loop: Header=BB14_92 Depth=2
	v_mov_b32_e32 v2, s49
	v_add_co_u32_e64 v1, vcc, -8, s48
	v_addc_co_u32_e32 v2, vcc, -1, v2, vcc
	flat_load_dwordx4 v[5:8], v[1:2]
	ds_read_b128 v[1:4], v15
                                        ; implicit-def: $vgpr9_vgpr10
	s_waitcnt vmcnt(0) lgkmcnt(0)
	v_cmp_ngt_f64_e64 s[50:51], |v[5:6]|, |v[7:8]|
	s_and_saveexec_b64 s[56:57], s[50:51]
	s_xor_b64 s[50:51], exec, s[56:57]
	s_cbranch_execz .LBB14_96
; %bb.95:                               ;   in Loop: Header=BB14_92 Depth=2
	v_div_scale_f64 v[9:10], s[56:57], v[7:8], v[7:8], v[5:6]
	v_rcp_f64_e32 v[11:12], v[9:10]
	v_fma_f64 v[19:20], -v[9:10], v[11:12], 1.0
	v_fma_f64 v[11:12], v[11:12], v[19:20], v[11:12]
	v_div_scale_f64 v[19:20], vcc, v[5:6], v[7:8], v[5:6]
	v_fma_f64 v[21:22], -v[9:10], v[11:12], 1.0
	v_fma_f64 v[11:12], v[11:12], v[21:22], v[11:12]
	v_mul_f64 v[21:22], v[19:20], v[11:12]
	v_fma_f64 v[9:10], -v[9:10], v[21:22], v[19:20]
	v_div_fmas_f64 v[9:10], v[9:10], v[11:12], v[21:22]
	v_div_fixup_f64 v[9:10], v[9:10], v[7:8], v[5:6]
	v_fma_f64 v[5:6], v[5:6], v[9:10], v[7:8]
	v_div_scale_f64 v[7:8], s[56:57], v[5:6], v[5:6], 1.0
	v_rcp_f64_e32 v[11:12], v[7:8]
	v_fma_f64 v[19:20], -v[7:8], v[11:12], 1.0
	v_fma_f64 v[11:12], v[11:12], v[19:20], v[11:12]
	v_div_scale_f64 v[19:20], vcc, 1.0, v[5:6], 1.0
	v_fma_f64 v[21:22], -v[7:8], v[11:12], 1.0
	v_fma_f64 v[11:12], v[11:12], v[21:22], v[11:12]
	v_mul_f64 v[21:22], v[19:20], v[11:12]
	v_fma_f64 v[7:8], -v[7:8], v[21:22], v[19:20]
	v_div_fmas_f64 v[7:8], v[7:8], v[11:12], v[21:22]
	v_fma_f64 v[11:12], v[9:10], v[1:2], v[3:4]
	v_fma_f64 v[1:2], v[9:10], v[3:4], -v[1:2]
	v_div_fixup_f64 v[5:6], v[7:8], v[5:6], 1.0
	v_mul_f64 v[9:10], v[11:12], v[5:6]
	v_mul_f64 v[11:12], v[5:6], v[1:2]
                                        ; implicit-def: $vgpr5_vgpr6
                                        ; implicit-def: $vgpr3_vgpr4
.LBB14_96:                              ;   in Loop: Header=BB14_92 Depth=2
	s_andn2_saveexec_b64 s[50:51], s[50:51]
	s_cbranch_execz .LBB14_98
; %bb.97:                               ;   in Loop: Header=BB14_92 Depth=2
	v_div_scale_f64 v[9:10], s[56:57], v[5:6], v[5:6], v[7:8]
	v_rcp_f64_e32 v[11:12], v[9:10]
	v_fma_f64 v[19:20], -v[9:10], v[11:12], 1.0
	v_fma_f64 v[11:12], v[11:12], v[19:20], v[11:12]
	v_div_scale_f64 v[19:20], vcc, v[7:8], v[5:6], v[7:8]
	v_fma_f64 v[21:22], -v[9:10], v[11:12], 1.0
	v_fma_f64 v[11:12], v[11:12], v[21:22], v[11:12]
	v_mul_f64 v[21:22], v[19:20], v[11:12]
	v_fma_f64 v[9:10], -v[9:10], v[21:22], v[19:20]
	v_div_fmas_f64 v[9:10], v[9:10], v[11:12], v[21:22]
	v_div_fixup_f64 v[9:10], v[9:10], v[5:6], v[7:8]
	v_fma_f64 v[5:6], v[7:8], v[9:10], v[5:6]
	v_div_scale_f64 v[7:8], s[56:57], v[5:6], v[5:6], 1.0
	v_rcp_f64_e32 v[11:12], v[7:8]
	v_fma_f64 v[19:20], -v[7:8], v[11:12], 1.0
	v_fma_f64 v[11:12], v[11:12], v[19:20], v[11:12]
	v_div_scale_f64 v[19:20], vcc, 1.0, v[5:6], 1.0
	v_fma_f64 v[21:22], -v[7:8], v[11:12], 1.0
	v_fma_f64 v[11:12], v[11:12], v[21:22], v[11:12]
	v_mul_f64 v[21:22], v[19:20], v[11:12]
	v_fma_f64 v[7:8], -v[7:8], v[21:22], v[19:20]
	v_div_fmas_f64 v[7:8], v[7:8], v[11:12], v[21:22]
	v_fma_f64 v[11:12], v[9:10], v[3:4], v[1:2]
	v_fma_f64 v[1:2], -v[9:10], v[1:2], v[3:4]
	v_div_fixup_f64 v[5:6], v[7:8], v[5:6], 1.0
	v_mul_f64 v[9:10], v[5:6], v[11:12]
	v_mul_f64 v[11:12], v[1:2], v[5:6]
.LBB14_98:                              ;   in Loop: Header=BB14_92 Depth=2
	s_or_b64 exec, exec, s[50:51]
	ds_write_b128 v15, v[9:12]
.LBB14_99:                              ;   in Loop: Header=BB14_92 Depth=2
	s_or_b64 exec, exec, s[2:3]
	v_cmp_lt_u32_e32 vcc, s53, v0
	v_cmp_ge_i32_e64 s[2:3], s54, v18
	s_and_b64 s[50:51], s[44:45], vcc
	s_and_b64 s[50:51], s[50:51], s[2:3]
	s_waitcnt lgkmcnt(0)
	s_barrier
	s_and_saveexec_b64 s[2:3], s[50:51]
	s_cbranch_execz .LBB14_101
; %bb.100:                              ;   in Loop: Header=BB14_92 Depth=2
	v_lshlrev_b64 v[1:2], 4, v[13:14]
	v_mov_b32_e32 v3, s47
	v_add_co_u32_e32 v1, vcc, s46, v1
	v_addc_co_u32_e32 v2, vcc, v3, v2, vcc
	flat_load_dwordx4 v[1:4], v[1:2]
	v_mov_b32_e32 v5, s52
	ds_read_b128 v[5:8], v5
	s_waitcnt vmcnt(0) lgkmcnt(0)
	v_mul_f64 v[9:10], v[3:4], v[7:8]
	v_mul_f64 v[7:8], v[1:2], v[7:8]
	v_fma_f64 v[9:10], v[1:2], v[5:6], -v[9:10]
	v_fma_f64 v[5:6], v[3:4], v[5:6], v[7:8]
	ds_read_b128 v[1:4], v15
	s_waitcnt lgkmcnt(0)
	v_add_f64 v[1:2], v[1:2], -v[9:10]
	v_add_f64 v[3:4], v[3:4], -v[5:6]
	ds_write_b128 v15, v[1:4]
.LBB14_101:                             ;   in Loop: Header=BB14_92 Depth=2
	s_or_b64 exec, exec, s[2:3]
	s_add_i32 s53, s53, 1
	s_add_i32 s52, s52, 16
	s_add_u32 s48, s48, s28
	s_addc_u32 s49, s49, s29
	s_add_u32 s46, s46, s28
	s_addc_u32 s47, s47, s29
	s_cmpk_eq_i32 s53, 0x200
	v_add_u32_e32 v13, -1, v13
	s_cselect_b64 s[2:3], -1, 0
	s_and_b64 vcc, exec, s[2:3]
	s_cbranch_vccz .LBB14_92
.LBB14_102:                             ;   in Loop: Header=BB14_88 Depth=1
	s_add_i32 s62, s61, 0x200
	s_cmp_ge_i32 s62, s9
	s_cselect_b64 s[2:3], -1, 0
	s_and_b64 vcc, exec, s[2:3]
	s_waitcnt lgkmcnt(0)
	s_barrier
	s_cbranch_vccnz .LBB14_122
; %bb.103:                              ;   in Loop: Header=BB14_88 Depth=1
	v_ashrrev_i32_e32 v4, 31, v16
	v_mov_b32_e32 v2, s35
	v_add_co_u32_e32 v1, vcc, s34, v16
	v_addc_co_u32_e32 v2, vcc, v2, v4, vcc
	v_mov_b32_e32 v5, s37
	v_add_co_u32_e32 v3, vcc, s36, v16
	v_addc_co_u32_e32 v4, vcc, v5, v4, vcc
	v_lshlrev_b64 v[1:2], 4, v[1:2]
	v_lshlrev_b64 v[3:4], 4, v[3:4]
	s_mov_b64 s[44:45], 0
	v_mov_b32_e32 v9, v0
	s_mov_b64 s[46:47], s[40:41]
	s_mov_b32 s63, s62
                                        ; implicit-def: $sgpr48_sgpr49
	s_branch .LBB14_106
.LBB14_104:                             ;   in Loop: Header=BB14_106 Depth=2
	v_mad_u64_u32 v[11:12], s[52:53], s6, v10, 0
	s_addk_i32 s63, 0x200
	s_add_u32 s46, s46, 0x2000
	v_mad_u64_u32 v[12:13], s[52:53], s7, v10, v[12:13]
	v_mov_b32_e32 v13, s33
	s_addc_u32 s47, s47, 0
	v_lshlrev_b64 v[10:11], 4, v[11:12]
	s_cmp_ge_i32 s63, s9
	v_add_co_u32_e32 v18, vcc, s8, v10
	v_addc_co_u32_e32 v19, vcc, v13, v11, vcc
	flat_load_dwordx4 v[10:13], v[18:19]
	s_cselect_b64 s[52:53], -1, 0
	s_andn2_b64 s[48:49], s[48:49], exec
	s_and_b64 s[52:53], s[52:53], exec
	s_or_b64 s[48:49], s[48:49], s[52:53]
	s_waitcnt vmcnt(0) lgkmcnt(0)
	v_add_f64 v[10:11], v[10:11], -v[7:8]
	v_add_f64 v[12:13], v[12:13], -v[5:6]
	flat_store_dwordx4 v[18:19], v[10:13]
.LBB14_105:                             ;   in Loop: Header=BB14_106 Depth=2
	s_or_b64 exec, exec, s[50:51]
	s_and_b64 s[50:51], exec, s[48:49]
	s_or_b64 s[44:45], s[50:51], s[44:45]
	s_andn2_b64 exec, exec, s[44:45]
	s_cbranch_execz .LBB14_121
.LBB14_106:                             ;   Parent Loop BB14_88 Depth=1
                                        ; =>  This Loop Header: Depth=2
                                        ;       Child Loop BB14_109 Depth 3
	v_add_u32_e32 v10, s63, v0
	v_cmp_gt_i32_e32 vcc, s9, v10
	s_or_b64 s[48:49], s[48:49], exec
	s_and_saveexec_b64 s[50:51], vcc
	s_cbranch_execz .LBB14_105
; %bb.107:                              ;   in Loop: Header=BB14_106 Depth=2
	v_mov_b32_e32 v5, 0
	v_mov_b32_e32 v7, 0
	v_subrev_u32_e32 v11, s10, v10
	v_add_u32_e32 v12, 0x1ff, v9
	v_add_u32_e32 v9, 0x200, v9
	v_mov_b32_e32 v6, 0
	s_mov_b32 s64, 0
	s_mov_b64 s[52:53], s[12:13]
	s_mov_b64 s[54:55], s[30:31]
	v_mov_b32_e32 v8, 0
	s_mov_b32 s65, 0
	s_branch .LBB14_109
.LBB14_108:                             ;   in Loop: Header=BB14_109 Depth=3
	s_or_b64 exec, exec, s[56:57]
	s_add_i32 s65, s65, 2
	s_add_u32 s54, s54, s11
	s_addc_u32 s55, s55, s60
	s_add_i32 s64, s64, 32
	s_add_u32 s52, s52, s11
	s_addc_u32 s53, s53, s60
	s_cmpk_eq_i32 s65, 0x200
	s_cbranch_scc1 .LBB14_104
.LBB14_109:                             ;   Parent Loop BB14_88 Depth=1
                                        ;     Parent Loop BB14_106 Depth=2
                                        ; =>    This Inner Loop Header: Depth=3
	v_cmp_ne_u32_e32 vcc, s65, v9
	s_add_i32 s66, s61, s65
	s_or_b64 s[56:57], s[38:39], vcc
	s_and_saveexec_b64 s[58:59], s[56:57]
	s_xor_b64 s[56:57], exec, s[58:59]
	s_cbranch_execz .LBB14_113
; %bb.110:                              ;   in Loop: Header=BB14_109 Depth=3
	s_cmp_lt_i32 s66, s9
	s_cselect_b64 s[58:59], -1, 0
	v_cmp_ge_i32_e32 vcc, s66, v11
	s_and_b64 s[68:69], s[58:59], vcc
	s_and_saveexec_b64 s[58:59], s[68:69]
	s_cbranch_execz .LBB14_112
; %bb.111:                              ;   in Loop: Header=BB14_109 Depth=3
	s_add_u32 s67, s52, s20
	s_addc_u32 s68, s53, s21
	v_mov_b32_e32 v13, s68
	v_add_co_u32_e32 v18, vcc, s67, v3
	v_addc_co_u32_e32 v13, vcc, v13, v4, vcc
	v_mov_b32_e32 v19, s47
	v_add_co_u32_e32 v18, vcc, s46, v18
	v_addc_co_u32_e32 v19, vcc, v13, v19, vcc
	flat_load_dwordx4 v[18:21], v[18:19]
	v_mov_b32_e32 v13, s64
	ds_read_b128 v[22:25], v13
	s_waitcnt vmcnt(0) lgkmcnt(0)
	v_mul_f64 v[26:27], v[20:21], v[24:25]
	v_mul_f64 v[24:25], v[18:19], v[24:25]
	v_fma_f64 v[18:19], v[18:19], v[22:23], -v[26:27]
	v_fma_f64 v[20:21], v[20:21], v[22:23], v[24:25]
	v_add_f64 v[7:8], v[7:8], v[18:19]
	v_add_f64 v[5:6], v[5:6], v[20:21]
.LBB14_112:                             ;   in Loop: Header=BB14_109 Depth=3
	s_or_b64 exec, exec, s[58:59]
.LBB14_113:                             ;   in Loop: Header=BB14_109 Depth=3
	s_andn2_saveexec_b64 s[56:57], s[56:57]
	s_cbranch_execz .LBB14_115
; %bb.114:                              ;   in Loop: Header=BB14_109 Depth=3
	v_mov_b32_e32 v13, s64
	ds_read_b128 v[18:21], v13
	s_waitcnt lgkmcnt(0)
	v_add_f64 v[7:8], v[7:8], v[18:19]
	v_add_f64 v[5:6], v[5:6], v[20:21]
.LBB14_115:                             ;   in Loop: Header=BB14_109 Depth=3
	s_or_b64 exec, exec, s[56:57]
	v_cmp_ne_u32_e32 vcc, s65, v12
	s_or_b64 s[56:57], s[38:39], vcc
	s_and_saveexec_b64 s[58:59], s[56:57]
	s_xor_b64 s[56:57], exec, s[58:59]
	s_cbranch_execz .LBB14_119
; %bb.116:                              ;   in Loop: Header=BB14_109 Depth=3
	s_add_i32 s66, s66, 1
	s_cmp_lt_i32 s66, s9
	s_cselect_b64 s[58:59], -1, 0
	v_cmp_ge_i32_e32 vcc, s66, v11
	s_and_b64 s[66:67], s[58:59], vcc
	s_and_saveexec_b64 s[58:59], s[66:67]
	s_cbranch_execz .LBB14_118
; %bb.117:                              ;   in Loop: Header=BB14_109 Depth=3
	s_add_u32 s66, s54, s20
	s_addc_u32 s67, s55, s21
	v_mov_b32_e32 v13, s67
	v_add_co_u32_e32 v18, vcc, s66, v1
	v_addc_co_u32_e32 v13, vcc, v13, v2, vcc
	v_mov_b32_e32 v19, s47
	v_add_co_u32_e32 v18, vcc, s46, v18
	v_addc_co_u32_e32 v19, vcc, v13, v19, vcc
	flat_load_dwordx4 v[18:21], v[18:19]
	v_mov_b32_e32 v13, s64
	ds_read_b128 v[22:25], v13 offset:16
	s_waitcnt vmcnt(0) lgkmcnt(0)
	v_mul_f64 v[26:27], v[20:21], v[24:25]
	v_mul_f64 v[24:25], v[18:19], v[24:25]
	v_fma_f64 v[18:19], v[18:19], v[22:23], -v[26:27]
	v_fma_f64 v[20:21], v[20:21], v[22:23], v[24:25]
	v_add_f64 v[7:8], v[7:8], v[18:19]
	v_add_f64 v[5:6], v[5:6], v[20:21]
.LBB14_118:                             ;   in Loop: Header=BB14_109 Depth=3
	s_or_b64 exec, exec, s[58:59]
.LBB14_119:                             ;   in Loop: Header=BB14_109 Depth=3
	s_andn2_saveexec_b64 s[56:57], s[56:57]
	s_cbranch_execz .LBB14_108
; %bb.120:                              ;   in Loop: Header=BB14_109 Depth=3
	v_mov_b32_e32 v13, s64
	ds_read_b128 v[18:21], v13 offset:16
	s_waitcnt lgkmcnt(0)
	v_add_f64 v[7:8], v[7:8], v[18:19]
	v_add_f64 v[5:6], v[5:6], v[20:21]
	s_branch .LBB14_108
.LBB14_121:                             ;   in Loop: Header=BB14_88 Depth=1
	s_or_b64 exec, exec, s[44:45]
.LBB14_122:                             ;   in Loop: Header=BB14_88 Depth=1
	s_and_saveexec_b64 s[44:45], s[0:1]
	s_cbranch_execz .LBB14_87
; %bb.123:                              ;   in Loop: Header=BB14_88 Depth=1
	v_mad_u64_u32 v[5:6], s[0:1], s6, v17, 0
	v_mov_b32_e32 v1, v6
	v_mad_u64_u32 v[6:7], s[0:1], s7, v17, v[1:2]
	ds_read2_b64 v[1:4], v15 offset1:1
	v_mov_b32_e32 v7, s33
	v_lshlrev_b64 v[5:6], 4, v[5:6]
	v_add_co_u32_e32 v5, vcc, s8, v5
	v_addc_co_u32_e32 v6, vcc, v7, v6, vcc
	s_waitcnt lgkmcnt(0)
	flat_store_dwordx4 v[5:6], v[1:4]
	s_branch .LBB14_87
.LBB14_124:
	s_mov_b64 s[0:1], 0
.LBB14_125:
	s_andn2_b64 vcc, exec, s[0:1]
	s_cbranch_vccnz .LBB14_165
; %bb.126:
	s_andn2_b64 vcc, exec, s[22:23]
	s_cbranch_vccnz .LBB14_165
; %bb.127:
	s_ashr_i32 s11, s10, 31
	s_add_i32 s28, s9, 0xfffffe00
	s_add_i32 s22, s9, -1
	s_lshl_b64 s[0:1], s[10:11], 4
	s_add_u32 s2, s20, s0
	s_addc_u32 s3, s21, s1
	s_ashr_i32 s23, s22, 31
	s_lshl_b64 s[0:1], s[22:23], 4
	s_sub_u32 s0, s2, s0
	s_subb_u32 s1, s3, s1
	s_add_u32 s20, s12, s0
	s_addc_u32 s21, s13, s1
	s_lshl_b64 s[24:25], s[16:17], 4
	s_add_u32 s23, s24, 16
	s_addc_u32 s44, s25, 0
	s_sub_i32 s0, s10, s9
	s_add_i32 s45, s0, 0x1ff
	s_add_u32 s0, s14, s10
	s_addc_u32 s1, s15, s11
	s_ashr_i32 s3, s9, 31
	s_mov_b32 s2, s9
	s_lshl_b64 s[0:1], s[0:1], 4
	s_lshl_b64 s[2:3], s[2:3], 4
	s_sub_u32 s0, s0, s2
	s_subb_u32 s1, s1, s3
	s_add_u32 s2, s12, s0
	s_addc_u32 s3, s13, s1
	s_add_u32 s11, s2, 0x2008
	s_addc_u32 s46, s3, 0
	s_lshl_b64 s[0:1], s[16:17], 5
	s_add_u32 s47, s0, 0xffffffe0
	v_mov_b32_e32 v1, 0x4000
	s_addc_u32 s48, s1, -1
	v_lshl_or_b32 v18, v0, 4, v1
	v_add_u32_e32 v1, s9, v0
	s_add_u32 s49, s2, 0x2000
	v_add_u32_e32 v13, 0xfffffe00, v1
	v_add_u32_e32 v19, 0xfffffc00, v1
	s_addc_u32 s50, s3, 0
	v_mov_b32_e32 v15, 0
	s_xor_b64 s[12:13], s[18:19], -1
	s_branch .LBB14_129
.LBB14_128:                             ;   in Loop: Header=BB14_129 Depth=1
	s_or_b64 exec, exec, s[14:15]
	s_addk_i32 s22, 0xfe00
	s_add_u32 s20, s20, 0x2000
	s_addc_u32 s21, s21, 0
	s_addk_i32 s9, 0xfe00
	s_addk_i32 s45, 0x200
	s_add_u32 s11, s11, 0x2000
	s_addc_u32 s46, s46, 0
	s_add_u32 s49, s49, 0x2000
	v_add_u32_e32 v13, 0xfffffe00, v13
	v_add_u32_e32 v19, 0xfffffe00, v19
	s_addc_u32 s50, s50, 0
	s_and_b64 vcc, exec, s[2:3]
	s_mov_b32 s28, s51
	s_waitcnt vmcnt(0) lgkmcnt(0)
	s_barrier
	s_cbranch_vccnz .LBB14_165
.LBB14_129:                             ; =>This Loop Header: Depth=1
                                        ;     Child Loop BB14_133 Depth 2
                                        ;     Child Loop BB14_147 Depth 2
                                        ;       Child Loop BB14_150 Depth 3
	v_add_u32_e32 v20, s28, v0
	v_cmp_gt_i32_e32 vcc, 0, v20
	v_cmp_lt_i32_e64 s[0:1], -1, v20
	s_and_saveexec_b64 s[14:15], s[0:1]
	s_cbranch_execz .LBB14_131
; %bb.130:                              ;   in Loop: Header=BB14_129 Depth=1
	v_mad_u64_u32 v[1:2], s[2:3], s6, v20, 0
	v_mad_u64_u32 v[2:3], s[2:3], s7, v20, v[2:3]
	v_mov_b32_e32 v3, s33
	v_lshlrev_b64 v[1:2], 4, v[1:2]
	v_add_co_u32_e64 v1, s[2:3], s8, v1
	v_addc_co_u32_e64 v2, s[2:3], v3, v2, s[2:3]
	flat_load_dwordx4 v[1:4], v[1:2]
	s_waitcnt vmcnt(0) lgkmcnt(0)
	ds_write2_b64 v18, v[1:2], v[3:4] offset1:1
.LBB14_131:                             ;   in Loop: Header=BB14_129 Depth=1
	s_or_b64 exec, exec, s[14:15]
	v_mov_b32_e32 v14, v15
	v_lshlrev_b64 v[1:2], 4, v[13:14]
	v_mov_b32_e32 v3, s21
	v_add_co_u32_e64 v16, s[2:3], s20, v1
	v_addc_co_u32_e64 v17, s[2:3], v3, v2, s[2:3]
	v_add_u32_e32 v14, s10, v20
	s_movk_i32 s29, 0x1ff
	s_movk_i32 s30, 0x5ff0
	s_xor_b64 s[14:15], vcc, -1
	s_mov_b32 s31, s22
	s_mov_b64 s[18:19], s[20:21]
	s_waitcnt lgkmcnt(0)
	s_barrier
	s_branch .LBB14_133
.LBB14_132:                             ;   in Loop: Header=BB14_133 Depth=2
                                        ; implicit-def: $sgpr29
                                        ; implicit-def: $sgpr30
                                        ; implicit-def: $sgpr18_sgpr19
                                        ; implicit-def: $sgpr31
                                        ; implicit-def: $vgpr16_vgpr17
	s_cbranch_execnz .LBB14_143
.LBB14_133:                             ;   Parent Loop BB14_129 Depth=1
                                        ; =>  This Inner Loop Header: Depth=2
	s_add_i32 s34, s22, s29
	s_addk_i32 s34, 0xfe01
	s_cmp_lt_i32 s34, 0
	s_cbranch_scc1 .LBB14_132
; %bb.134:                              ;   in Loop: Header=BB14_133 Depth=2
	v_cmp_eq_u32_e32 vcc, s29, v0
	s_and_b64 s[26:27], s[12:13], vcc
	s_and_saveexec_b64 s[2:3], s[26:27]
	s_cbranch_execz .LBB14_140
; %bb.135:                              ;   in Loop: Header=BB14_133 Depth=2
	s_mul_i32 s26, s44, s31
	s_mul_hi_u32 s27, s23, s31
	s_add_i32 s27, s27, s26
	s_mul_i32 s26, s23, s31
	s_add_u32 s26, s18, s26
	s_addc_u32 s27, s19, s27
	v_mov_b32_e32 v1, s26
	v_mov_b32_e32 v2, s27
	flat_load_dwordx4 v[5:8], v[1:2]
	ds_read_b128 v[1:4], v18
                                        ; implicit-def: $vgpr9_vgpr10
	s_waitcnt vmcnt(0) lgkmcnt(0)
	v_cmp_ngt_f64_e64 s[26:27], |v[5:6]|, |v[7:8]|
	s_and_saveexec_b64 s[36:37], s[26:27]
	s_xor_b64 s[26:27], exec, s[36:37]
	s_cbranch_execz .LBB14_137
; %bb.136:                              ;   in Loop: Header=BB14_133 Depth=2
	v_div_scale_f64 v[9:10], s[36:37], v[7:8], v[7:8], v[5:6]
	v_rcp_f64_e32 v[11:12], v[9:10]
	v_fma_f64 v[21:22], -v[9:10], v[11:12], 1.0
	v_fma_f64 v[11:12], v[11:12], v[21:22], v[11:12]
	v_div_scale_f64 v[21:22], vcc, v[5:6], v[7:8], v[5:6]
	v_fma_f64 v[23:24], -v[9:10], v[11:12], 1.0
	v_fma_f64 v[11:12], v[11:12], v[23:24], v[11:12]
	v_mul_f64 v[23:24], v[21:22], v[11:12]
	v_fma_f64 v[9:10], -v[9:10], v[23:24], v[21:22]
	v_div_fmas_f64 v[9:10], v[9:10], v[11:12], v[23:24]
	v_div_fixup_f64 v[9:10], v[9:10], v[7:8], v[5:6]
	v_fma_f64 v[5:6], v[5:6], v[9:10], v[7:8]
	v_div_scale_f64 v[7:8], s[36:37], v[5:6], v[5:6], 1.0
	v_rcp_f64_e32 v[11:12], v[7:8]
	v_fma_f64 v[21:22], -v[7:8], v[11:12], 1.0
	v_fma_f64 v[11:12], v[11:12], v[21:22], v[11:12]
	v_div_scale_f64 v[21:22], vcc, 1.0, v[5:6], 1.0
	v_fma_f64 v[23:24], -v[7:8], v[11:12], 1.0
	v_fma_f64 v[11:12], v[11:12], v[23:24], v[11:12]
	v_mul_f64 v[23:24], v[21:22], v[11:12]
	v_fma_f64 v[7:8], -v[7:8], v[23:24], v[21:22]
	v_div_fmas_f64 v[7:8], v[7:8], v[11:12], v[23:24]
	v_fma_f64 v[11:12], v[9:10], v[1:2], v[3:4]
	v_fma_f64 v[1:2], v[9:10], v[3:4], -v[1:2]
	v_div_fixup_f64 v[5:6], v[7:8], v[5:6], 1.0
	v_mul_f64 v[9:10], v[11:12], v[5:6]
	v_mul_f64 v[11:12], v[5:6], v[1:2]
                                        ; implicit-def: $vgpr5_vgpr6
                                        ; implicit-def: $vgpr3_vgpr4
.LBB14_137:                             ;   in Loop: Header=BB14_133 Depth=2
	s_andn2_saveexec_b64 s[26:27], s[26:27]
	s_cbranch_execz .LBB14_139
; %bb.138:                              ;   in Loop: Header=BB14_133 Depth=2
	v_div_scale_f64 v[9:10], s[36:37], v[5:6], v[5:6], v[7:8]
	v_rcp_f64_e32 v[11:12], v[9:10]
	v_fma_f64 v[21:22], -v[9:10], v[11:12], 1.0
	v_fma_f64 v[11:12], v[11:12], v[21:22], v[11:12]
	v_div_scale_f64 v[21:22], vcc, v[7:8], v[5:6], v[7:8]
	v_fma_f64 v[23:24], -v[9:10], v[11:12], 1.0
	v_fma_f64 v[11:12], v[11:12], v[23:24], v[11:12]
	v_mul_f64 v[23:24], v[21:22], v[11:12]
	v_fma_f64 v[9:10], -v[9:10], v[23:24], v[21:22]
	v_div_fmas_f64 v[9:10], v[9:10], v[11:12], v[23:24]
	v_div_fixup_f64 v[9:10], v[9:10], v[5:6], v[7:8]
	v_fma_f64 v[5:6], v[7:8], v[9:10], v[5:6]
	v_div_scale_f64 v[7:8], s[36:37], v[5:6], v[5:6], 1.0
	v_rcp_f64_e32 v[11:12], v[7:8]
	v_fma_f64 v[21:22], -v[7:8], v[11:12], 1.0
	v_fma_f64 v[11:12], v[11:12], v[21:22], v[11:12]
	v_div_scale_f64 v[21:22], vcc, 1.0, v[5:6], 1.0
	v_fma_f64 v[23:24], -v[7:8], v[11:12], 1.0
	v_fma_f64 v[11:12], v[11:12], v[23:24], v[11:12]
	v_mul_f64 v[23:24], v[21:22], v[11:12]
	v_fma_f64 v[7:8], -v[7:8], v[23:24], v[21:22]
	v_div_fmas_f64 v[7:8], v[7:8], v[11:12], v[23:24]
	v_fma_f64 v[11:12], v[9:10], v[3:4], v[1:2]
	v_fma_f64 v[1:2], -v[9:10], v[1:2], v[3:4]
	v_div_fixup_f64 v[5:6], v[7:8], v[5:6], 1.0
	v_mul_f64 v[9:10], v[5:6], v[11:12]
	v_mul_f64 v[11:12], v[1:2], v[5:6]
.LBB14_139:                             ;   in Loop: Header=BB14_133 Depth=2
	s_or_b64 exec, exec, s[26:27]
	ds_write_b128 v18, v[9:12]
.LBB14_140:                             ;   in Loop: Header=BB14_133 Depth=2
	s_or_b64 exec, exec, s[2:3]
	v_cmp_gt_u32_e32 vcc, s29, v0
	v_cmp_le_i32_e64 s[2:3], s34, v14
	s_and_b64 s[26:27], s[14:15], vcc
	s_and_b64 s[26:27], s[26:27], s[2:3]
	s_waitcnt lgkmcnt(0)
	s_barrier
	s_and_saveexec_b64 s[2:3], s[26:27]
	s_cbranch_execz .LBB14_142
; %bb.141:                              ;   in Loop: Header=BB14_133 Depth=2
	v_mov_b32_e32 v1, s31
	v_mad_u64_u32 v[1:2], s[26:27], s24, v1, v[16:17]
	s_mul_i32 s26, s25, s31
	v_mov_b32_e32 v5, s30
	v_add_u32_e32 v2, s26, v2
	flat_load_dwordx4 v[1:4], v[1:2]
	ds_read_b128 v[5:8], v5
	s_waitcnt vmcnt(0) lgkmcnt(0)
	v_mul_f64 v[9:10], v[3:4], v[7:8]
	v_mul_f64 v[7:8], v[1:2], v[7:8]
	v_fma_f64 v[9:10], v[1:2], v[5:6], -v[9:10]
	v_fma_f64 v[5:6], v[3:4], v[5:6], v[7:8]
	ds_read_b128 v[1:4], v18
	s_waitcnt lgkmcnt(0)
	v_add_f64 v[1:2], v[1:2], -v[9:10]
	v_add_f64 v[3:4], v[3:4], -v[5:6]
	ds_write_b128 v18, v[1:4]
.LBB14_142:                             ;   in Loop: Header=BB14_133 Depth=2
	s_or_b64 exec, exec, s[2:3]
	s_add_i32 s29, s29, -1
	s_add_i32 s30, s30, -16
	s_add_u32 s18, s18, 16
	s_addc_u32 s19, s19, 0
	s_add_i32 s31, s31, -1
	v_add_co_u32_e32 v16, vcc, 16, v16
	s_cmp_eq_u32 s29, -1
	v_addc_co_u32_e32 v17, vcc, 0, v17, vcc
	s_cselect_b64 s[2:3], -1, 0
	s_and_b64 vcc, exec, s[2:3]
	s_cbranch_vccz .LBB14_133
.LBB14_143:                             ;   in Loop: Header=BB14_129 Depth=1
	s_add_i32 s51, s28, 0xfffffe00
	s_cmp_lt_i32 s28, 1
	s_cselect_b64 s[2:3], -1, 0
	s_and_b64 vcc, exec, s[2:3]
	s_waitcnt lgkmcnt(0)
	s_barrier
	s_cbranch_vccnz .LBB14_163
; %bb.144:                              ;   in Loop: Header=BB14_129 Depth=1
	s_mul_i32 s14, s25, s28
	s_mul_hi_u32 s15, s24, s28
	s_add_i32 s19, s15, s14
	s_mul_i32 s18, s24, s28
	s_add_u32 s14, s11, s18
	s_addc_u32 s15, s46, s19
	s_add_u32 s18, s49, s18
	s_addc_u32 s19, s50, s19
	s_mov_b64 s[26:27], 0
	v_mov_b32_e32 v1, v19
	v_mov_b32_e32 v8, v0
	s_mov_b32 s52, s51
                                        ; implicit-def: $sgpr28_sgpr29
	s_branch .LBB14_147
.LBB14_145:                             ;   in Loop: Header=BB14_147 Depth=2
	v_mad_u64_u32 v[6:7], s[34:35], s6, v14, 0
	s_add_i32 s36, s52, 0xfffffe00
	s_cmp_lt_i32 s52, 1
	v_mad_u64_u32 v[9:10], s[34:35], s7, v14, v[7:8]
	v_mov_b32_e32 v10, s33
	s_cselect_b64 s[34:35], -1, 0
	v_mov_b32_e32 v7, v9
	v_lshlrev_b64 v[6:7], 4, v[6:7]
	s_andn2_b64 s[28:29], s[28:29], exec
	v_add_co_u32_e32 v16, vcc, s8, v6
	v_addc_co_u32_e32 v17, vcc, v10, v7, vcc
	flat_load_dwordx4 v[9:12], v[16:17]
	s_and_b64 s[34:35], s[34:35], exec
	v_add_u32_e32 v1, 0xfffffe00, v1
	s_or_b64 s[28:29], s[28:29], s[34:35]
	s_mov_b32 s52, s36
	s_waitcnt vmcnt(0) lgkmcnt(0)
	v_add_f64 v[4:5], v[9:10], -v[4:5]
	v_add_f64 v[6:7], v[11:12], -v[2:3]
	flat_store_dwordx4 v[16:17], v[4:7]
.LBB14_146:                             ;   in Loop: Header=BB14_147 Depth=2
	s_or_b64 exec, exec, s[30:31]
	s_and_b64 s[30:31], exec, s[28:29]
	s_or_b64 s[26:27], s[30:31], s[26:27]
	s_andn2_b64 exec, exec, s[26:27]
	s_cbranch_execz .LBB14_162
.LBB14_147:                             ;   Parent Loop BB14_129 Depth=1
                                        ; =>  This Loop Header: Depth=2
                                        ;       Child Loop BB14_150 Depth 3
	v_add_u32_e32 v14, s52, v0
	v_cmp_lt_i32_e32 vcc, -1, v14
	s_or_b64 s[28:29], s[28:29], exec
	s_and_saveexec_b64 s[30:31], vcc
	s_cbranch_execz .LBB14_146
; %bb.148:                              ;   in Loop: Header=BB14_147 Depth=2
	v_mov_b32_e32 v2, v15
	v_lshlrev_b64 v[6:7], 4, v[1:2]
	v_lshlrev_b64 v[2:3], 4, v[14:15]
	v_mov_b32_e32 v4, s5
	v_add_co_u32_e32 v9, vcc, s4, v2
	v_addc_co_u32_e32 v10, vcc, v4, v3, vcc
	v_mov_b32_e32 v2, 0
	v_mov_b32_e32 v4, 0
	v_add_u32_e32 v11, s10, v14
	v_add_u32_e32 v12, 0xfffffdff, v8
	;; [unrolled: 1-line block ×3, first 2 shown]
	v_mov_b32_e32 v3, 0
	s_mov_b32 s53, 0
	s_movk_i32 s54, 0x4000
	s_mov_b64 s[34:35], s[18:19]
	s_mov_b64 s[36:37], s[14:15]
	v_mov_b32_e32 v5, 0
	s_mov_b32 s38, s45
	s_branch .LBB14_150
.LBB14_149:                             ;   in Loop: Header=BB14_150 Depth=3
	s_or_b64 exec, exec, s[40:41]
	s_add_i32 s53, s53, 2
	s_add_i32 s54, s54, 32
	s_add_i32 s38, s38, -2
	s_add_u32 s36, s36, s47
	s_addc_u32 s37, s37, s48
	s_add_u32 s34, s34, s47
	s_addc_u32 s35, s35, s48
	s_cmpk_eq_i32 s53, 0x200
	s_cbranch_scc1 .LBB14_145
.LBB14_150:                             ;   Parent Loop BB14_129 Depth=1
                                        ;     Parent Loop BB14_147 Depth=2
                                        ; =>    This Inner Loop Header: Depth=3
	v_cmp_ne_u32_e32 vcc, s53, v8
	s_add_i32 s39, s9, s53
	s_or_b64 s[40:41], s[12:13], vcc
	s_and_saveexec_b64 s[42:43], s[40:41]
	s_xor_b64 s[40:41], exec, s[42:43]
	s_cbranch_execz .LBB14_154
; %bb.151:                              ;   in Loop: Header=BB14_150 Depth=3
	s_add_i32 s42, s39, 0xfffffe00
	v_cmp_le_i32_e32 vcc, s42, v11
	s_and_saveexec_b64 s[42:43], vcc
	s_cbranch_execz .LBB14_153
; %bb.152:                              ;   in Loop: Header=BB14_150 Depth=3
	v_mov_b32_e32 v17, s35
	v_add_co_u32_e32 v16, vcc, s34, v6
	v_addc_co_u32_e32 v17, vcc, v17, v7, vcc
	v_mov_b32_e32 v22, s37
	v_add_co_u32_e32 v21, vcc, s36, v6
	v_addc_co_u32_e32 v22, vcc, v22, v7, vcc
	flat_load_dwordx2 v[25:26], v[21:22]
	s_nop 0
	flat_load_dwordx2 v[16:17], v[16:17]
	v_mov_b32_e32 v21, s54
	ds_read_b128 v[21:24], v21
	s_waitcnt vmcnt(0) lgkmcnt(0)
	v_mul_f64 v[27:28], v[25:26], v[23:24]
	v_mul_f64 v[23:24], v[16:17], v[23:24]
	v_fma_f64 v[16:17], v[16:17], v[21:22], -v[27:28]
	v_fma_f64 v[21:22], v[25:26], v[21:22], v[23:24]
	v_add_f64 v[4:5], v[4:5], v[16:17]
	v_add_f64 v[2:3], v[2:3], v[21:22]
.LBB14_153:                             ;   in Loop: Header=BB14_150 Depth=3
	s_or_b64 exec, exec, s[42:43]
.LBB14_154:                             ;   in Loop: Header=BB14_150 Depth=3
	s_andn2_saveexec_b64 s[40:41], s[40:41]
	s_cbranch_execz .LBB14_156
; %bb.155:                              ;   in Loop: Header=BB14_150 Depth=3
	v_mov_b32_e32 v16, s54
	ds_read_b128 v[21:24], v16
	s_waitcnt lgkmcnt(0)
	v_add_f64 v[4:5], v[4:5], v[21:22]
	v_add_f64 v[2:3], v[2:3], v[23:24]
.LBB14_156:                             ;   in Loop: Header=BB14_150 Depth=3
	s_or_b64 exec, exec, s[40:41]
	v_cmp_ne_u32_e32 vcc, s53, v12
	s_or_b64 s[40:41], s[12:13], vcc
	s_and_saveexec_b64 s[42:43], s[40:41]
	s_xor_b64 s[40:41], exec, s[42:43]
	s_cbranch_execz .LBB14_160
; %bb.157:                              ;   in Loop: Header=BB14_150 Depth=3
	s_addk_i32 s39, 0xfe01
	v_cmp_le_i32_e32 vcc, s39, v11
	s_and_saveexec_b64 s[42:43], vcc
	s_cbranch_execz .LBB14_159
; %bb.158:                              ;   in Loop: Header=BB14_150 Depth=3
	s_mul_i32 s55, s17, s39
	s_mul_hi_u32 s56, s16, s39
	s_add_i32 s57, s56, s55
	s_mul_i32 s56, s16, s39
	s_lshl_b64 s[56:57], s[56:57], 4
	s_ashr_i32 s39, s38, 31
	v_mov_b32_e32 v16, s57
	v_add_co_u32_e32 v17, vcc, s56, v9
	v_addc_co_u32_e32 v21, vcc, v10, v16, vcc
	s_lshl_b64 s[56:57], s[38:39], 4
	v_mov_b32_e32 v22, s57
	v_add_co_u32_e32 v16, vcc, s56, v17
	v_addc_co_u32_e32 v17, vcc, v21, v22, vcc
	flat_load_dwordx4 v[21:24], v[16:17]
	v_mov_b32_e32 v16, s54
	ds_read_b128 v[25:28], v16 offset:16
	s_waitcnt vmcnt(0) lgkmcnt(0)
	v_mul_f64 v[16:17], v[23:24], v[27:28]
	v_mul_f64 v[27:28], v[21:22], v[27:28]
	v_fma_f64 v[16:17], v[21:22], v[25:26], -v[16:17]
	v_fma_f64 v[21:22], v[23:24], v[25:26], v[27:28]
	v_add_f64 v[4:5], v[4:5], v[16:17]
	v_add_f64 v[2:3], v[2:3], v[21:22]
.LBB14_159:                             ;   in Loop: Header=BB14_150 Depth=3
	s_or_b64 exec, exec, s[42:43]
.LBB14_160:                             ;   in Loop: Header=BB14_150 Depth=3
	s_andn2_saveexec_b64 s[40:41], s[40:41]
	s_cbranch_execz .LBB14_149
; %bb.161:                              ;   in Loop: Header=BB14_150 Depth=3
	v_mov_b32_e32 v16, s54
	ds_read_b128 v[21:24], v16 offset:16
	s_waitcnt lgkmcnt(0)
	v_add_f64 v[4:5], v[4:5], v[21:22]
	v_add_f64 v[2:3], v[2:3], v[23:24]
	s_branch .LBB14_149
.LBB14_162:                             ;   in Loop: Header=BB14_129 Depth=1
	s_or_b64 exec, exec, s[26:27]
.LBB14_163:                             ;   in Loop: Header=BB14_129 Depth=1
	s_and_saveexec_b64 s[14:15], s[0:1]
	s_cbranch_execz .LBB14_128
; %bb.164:                              ;   in Loop: Header=BB14_129 Depth=1
	v_mad_u64_u32 v[5:6], s[0:1], s6, v20, 0
	v_mov_b32_e32 v1, v6
	v_mad_u64_u32 v[6:7], s[0:1], s7, v20, v[1:2]
	ds_read2_b64 v[1:4], v18 offset1:1
	v_mov_b32_e32 v7, s33
	v_lshlrev_b64 v[5:6], 4, v[5:6]
	v_add_co_u32_e32 v5, vcc, s8, v5
	v_addc_co_u32_e32 v6, vcc, v7, v6, vcc
	s_waitcnt lgkmcnt(0)
	flat_store_dwordx4 v[5:6], v[1:4]
	s_branch .LBB14_128
.LBB14_165:
	s_endpgm
	.section	.rodata,"a",@progbits
	.p2align	6, 0x0
	.amdhsa_kernel _ZL19rocblas_tbsv_kernelILb1ELi512EPKPK19rocblas_complex_numIdEPKPS1_Ev18rocblas_operation_bbiiT1_lllT2_lll
		.amdhsa_group_segment_fixed_size 32768
		.amdhsa_private_segment_fixed_size 0
		.amdhsa_kernarg_size 80
		.amdhsa_user_sgpr_count 6
		.amdhsa_user_sgpr_private_segment_buffer 1
		.amdhsa_user_sgpr_dispatch_ptr 0
		.amdhsa_user_sgpr_queue_ptr 0
		.amdhsa_user_sgpr_kernarg_segment_ptr 1
		.amdhsa_user_sgpr_dispatch_id 0
		.amdhsa_user_sgpr_flat_scratch_init 0
		.amdhsa_user_sgpr_private_segment_size 0
		.amdhsa_uses_dynamic_stack 0
		.amdhsa_system_sgpr_private_segment_wavefront_offset 0
		.amdhsa_system_sgpr_workgroup_id_x 1
		.amdhsa_system_sgpr_workgroup_id_y 0
		.amdhsa_system_sgpr_workgroup_id_z 0
		.amdhsa_system_sgpr_workgroup_info 0
		.amdhsa_system_vgpr_workitem_id 0
		.amdhsa_next_free_vgpr 49
		.amdhsa_next_free_sgpr 98
		.amdhsa_reserve_vcc 1
		.amdhsa_reserve_flat_scratch 0
		.amdhsa_float_round_mode_32 0
		.amdhsa_float_round_mode_16_64 0
		.amdhsa_float_denorm_mode_32 3
		.amdhsa_float_denorm_mode_16_64 3
		.amdhsa_dx10_clamp 1
		.amdhsa_ieee_mode 1
		.amdhsa_fp16_overflow 0
		.amdhsa_exception_fp_ieee_invalid_op 0
		.amdhsa_exception_fp_denorm_src 0
		.amdhsa_exception_fp_ieee_div_zero 0
		.amdhsa_exception_fp_ieee_overflow 0
		.amdhsa_exception_fp_ieee_underflow 0
		.amdhsa_exception_fp_ieee_inexact 0
		.amdhsa_exception_int_div_zero 0
	.end_amdhsa_kernel
	.section	.text._ZL19rocblas_tbsv_kernelILb1ELi512EPKPK19rocblas_complex_numIdEPKPS1_Ev18rocblas_operation_bbiiT1_lllT2_lll,"axG",@progbits,_ZL19rocblas_tbsv_kernelILb1ELi512EPKPK19rocblas_complex_numIdEPKPS1_Ev18rocblas_operation_bbiiT1_lllT2_lll,comdat
.Lfunc_end14:
	.size	_ZL19rocblas_tbsv_kernelILb1ELi512EPKPK19rocblas_complex_numIdEPKPS1_Ev18rocblas_operation_bbiiT1_lllT2_lll, .Lfunc_end14-_ZL19rocblas_tbsv_kernelILb1ELi512EPKPK19rocblas_complex_numIdEPKPS1_Ev18rocblas_operation_bbiiT1_lllT2_lll
                                        ; -- End function
	.set _ZL19rocblas_tbsv_kernelILb1ELi512EPKPK19rocblas_complex_numIdEPKPS1_Ev18rocblas_operation_bbiiT1_lllT2_lll.num_vgpr, 30
	.set _ZL19rocblas_tbsv_kernelILb1ELi512EPKPK19rocblas_complex_numIdEPKPS1_Ev18rocblas_operation_bbiiT1_lllT2_lll.num_agpr, 0
	.set _ZL19rocblas_tbsv_kernelILb1ELi512EPKPK19rocblas_complex_numIdEPKPS1_Ev18rocblas_operation_bbiiT1_lllT2_lll.numbered_sgpr, 70
	.set _ZL19rocblas_tbsv_kernelILb1ELi512EPKPK19rocblas_complex_numIdEPKPS1_Ev18rocblas_operation_bbiiT1_lllT2_lll.num_named_barrier, 0
	.set _ZL19rocblas_tbsv_kernelILb1ELi512EPKPK19rocblas_complex_numIdEPKPS1_Ev18rocblas_operation_bbiiT1_lllT2_lll.private_seg_size, 0
	.set _ZL19rocblas_tbsv_kernelILb1ELi512EPKPK19rocblas_complex_numIdEPKPS1_Ev18rocblas_operation_bbiiT1_lllT2_lll.uses_vcc, 1
	.set _ZL19rocblas_tbsv_kernelILb1ELi512EPKPK19rocblas_complex_numIdEPKPS1_Ev18rocblas_operation_bbiiT1_lllT2_lll.uses_flat_scratch, 0
	.set _ZL19rocblas_tbsv_kernelILb1ELi512EPKPK19rocblas_complex_numIdEPKPS1_Ev18rocblas_operation_bbiiT1_lllT2_lll.has_dyn_sized_stack, 0
	.set _ZL19rocblas_tbsv_kernelILb1ELi512EPKPK19rocblas_complex_numIdEPKPS1_Ev18rocblas_operation_bbiiT1_lllT2_lll.has_recursion, 0
	.set _ZL19rocblas_tbsv_kernelILb1ELi512EPKPK19rocblas_complex_numIdEPKPS1_Ev18rocblas_operation_bbiiT1_lllT2_lll.has_indirect_call, 0
	.section	.AMDGPU.csdata,"",@progbits
; Kernel info:
; codeLenInByte = 7728
; TotalNumSgprs: 74
; NumVgprs: 30
; ScratchSize: 0
; MemoryBound: 0
; FloatMode: 240
; IeeeMode: 1
; LDSByteSize: 32768 bytes/workgroup (compile time only)
; SGPRBlocks: 12
; VGPRBlocks: 12
; NumSGPRsForWavesPerEU: 102
; NumVGPRsForWavesPerEU: 49
; Occupancy: 4
; WaveLimiterHint : 1
; COMPUTE_PGM_RSRC2:SCRATCH_EN: 0
; COMPUTE_PGM_RSRC2:USER_SGPR: 6
; COMPUTE_PGM_RSRC2:TRAP_HANDLER: 0
; COMPUTE_PGM_RSRC2:TGID_X_EN: 1
; COMPUTE_PGM_RSRC2:TGID_Y_EN: 0
; COMPUTE_PGM_RSRC2:TGID_Z_EN: 0
; COMPUTE_PGM_RSRC2:TIDIG_COMP_CNT: 0
	.section	.text._ZL19rocblas_tbsv_kernelILb0ELi512EPKPK19rocblas_complex_numIdEPKPS1_Ev18rocblas_operation_bbiiT1_lllT2_lll,"axG",@progbits,_ZL19rocblas_tbsv_kernelILb0ELi512EPKPK19rocblas_complex_numIdEPKPS1_Ev18rocblas_operation_bbiiT1_lllT2_lll,comdat
	.globl	_ZL19rocblas_tbsv_kernelILb0ELi512EPKPK19rocblas_complex_numIdEPKPS1_Ev18rocblas_operation_bbiiT1_lllT2_lll ; -- Begin function _ZL19rocblas_tbsv_kernelILb0ELi512EPKPK19rocblas_complex_numIdEPKPS1_Ev18rocblas_operation_bbiiT1_lllT2_lll
	.p2align	8
	.type	_ZL19rocblas_tbsv_kernelILb0ELi512EPKPK19rocblas_complex_numIdEPKPS1_Ev18rocblas_operation_bbiiT1_lllT2_lll,@function
_ZL19rocblas_tbsv_kernelILb0ELi512EPKPK19rocblas_complex_numIdEPKPS1_Ev18rocblas_operation_bbiiT1_lllT2_lll: ; @_ZL19rocblas_tbsv_kernelILb0ELi512EPKPK19rocblas_complex_numIdEPKPS1_Ev18rocblas_operation_bbiiT1_lllT2_lll
; %bb.0:
	s_load_dwordx2 s[26:27], s[4:5], 0x0
	s_load_dwordx4 s[8:11], s[4:5], 0x4
	s_load_dwordx4 s[12:15], s[4:5], 0x10
	s_load_dwordx2 s[16:17], s[4:5], 0x20
	s_mov_b32 s7, 0
	s_waitcnt lgkmcnt(0)
	s_bitcmp1_b32 s27, 0
	s_cselect_b64 s[0:1], -1, 0
	s_xor_b64 s[24:25], s[0:1], -1
	s_bitcmp1_b32 s8, 8
	s_cselect_b64 s[18:19], -1, 0
	s_lshl_b64 s[22:23], s[6:7], 3
	s_add_u32 s20, s12, s22
	s_addc_u32 s21, s13, s23
	s_load_dwordx2 s[12:13], s[20:21], 0x0
	s_load_dwordx4 s[0:3], s[4:5], 0x30
	s_load_dwordx2 s[6:7], s[4:5], 0x40
	s_lshl_b64 s[20:21], s[14:15], 4
	s_waitcnt lgkmcnt(0)
	s_add_u32 s4, s12, s20
	s_addc_u32 s5, s13, s21
	s_add_u32 s0, s0, s22
	s_addc_u32 s1, s1, s23
	s_load_dwordx2 s[0:1], s[0:1], 0x0
	s_lshl_b64 s[2:3], s[2:3], 4
	s_waitcnt lgkmcnt(0)
	s_add_u32 s8, s0, s2
	s_addc_u32 s33, s1, s3
	s_cmp_gt_i32 s9, 0
	s_cselect_b64 s[22:23], -1, 0
	s_cmpk_lg_i32 s26, 0x6f
	s_mov_b64 s[0:1], -1
	s_cbranch_scc0 .LBB15_83
; %bb.1:
	s_and_b64 vcc, exec, s[24:25]
	s_cbranch_vccz .LBB15_42
; %bb.2:
	s_andn2_b64 vcc, exec, s[22:23]
	s_cbranch_vccnz .LBB15_41
; %bb.3:
	s_ashr_i32 s1, s9, 31
	s_mov_b32 s0, s9
	s_add_i32 s38, s9, 0xfffffe00
	s_add_i32 s11, s9, -1
	s_lshl_b64 s[0:1], s[0:1], 4
	s_add_u32 s0, s20, s0
	s_addc_u32 s1, s21, s1
	s_add_u32 s0, s12, s0
	v_mov_b32_e32 v1, 0x6000
	s_addc_u32 s1, s13, s1
	v_lshl_or_b32 v15, v0, 4, v1
	s_add_u32 s26, s0, 0xffffe000
	v_add_u32_e32 v1, s9, v0
	v_sub_u32_e32 v16, 0, v0
	s_addc_u32 s27, s1, -1
	v_add_u32_e32 v17, 0xfffffc00, v1
	s_lshl_b64 s[28:29], s[16:17], 4
	v_mov_b32_e32 v18, s5
	s_xor_b64 s[30:31], s[18:19], -1
	v_mov_b32_e32 v14, 0
	s_mov_b32 s44, s9
	s_branch .LBB15_5
.LBB15_4:                               ;   in Loop: Header=BB15_5 Depth=1
	s_or_b64 exec, exec, s[34:35]
	s_addk_i32 s11, 0xfe00
	s_addk_i32 s44, 0xfe00
	s_add_u32 s26, s26, 0xffffe000
	s_addc_u32 s27, s27, -1
	v_add_u32_e32 v17, 0xfffffe00, v17
	s_andn2_b64 vcc, exec, s[2:3]
	s_mov_b32 s38, s45
	s_waitcnt vmcnt(0) lgkmcnt(0)
	s_barrier
	s_cbranch_vccz .LBB15_41
.LBB15_5:                               ; =>This Loop Header: Depth=1
                                        ;     Child Loop BB15_10 Depth 2
                                        ;     Child Loop BB15_23 Depth 2
                                        ;       Child Loop BB15_26 Depth 3
	v_add_u32_e32 v19, s38, v0
	v_cmp_gt_i32_e32 vcc, 0, v19
	v_cmp_lt_i32_e64 s[0:1], -1, v19
	s_and_saveexec_b64 s[34:35], s[0:1]
	s_cbranch_execz .LBB15_7
; %bb.6:                                ;   in Loop: Header=BB15_5 Depth=1
	v_mad_u64_u32 v[1:2], s[2:3], s6, v19, 0
	v_mad_u64_u32 v[2:3], s[2:3], s7, v19, v[2:3]
	v_mov_b32_e32 v3, s33
	v_lshlrev_b64 v[1:2], 4, v[1:2]
	v_add_co_u32_e64 v1, s[2:3], s8, v1
	v_addc_co_u32_e64 v2, s[2:3], v3, v2, s[2:3]
	flat_load_dwordx4 v[1:4], v[1:2]
	s_waitcnt vmcnt(0) lgkmcnt(0)
	ds_write2_b64 v15, v[1:2], v[3:4] offset1:1
.LBB15_7:                               ;   in Loop: Header=BB15_5 Depth=1
	s_or_b64 exec, exec, s[34:35]
	v_ashrrev_i32_e32 v1, 31, v19
	v_mul_lo_u32 v3, s17, v19
	v_mul_lo_u32 v4, s16, v1
	v_mad_u64_u32 v[1:2], s[2:3], s16, v19, 0
	v_add_u32_e32 v20, s10, v19
	s_movk_i32 s39, 0x1ff
	v_add3_u32 v2, v2, v4, v3
	v_lshlrev_b64 v[1:2], 4, v[1:2]
	s_movk_i32 s40, 0x7ff0
	v_add_co_u32_e64 v21, s[2:3], s4, v1
	v_addc_co_u32_e64 v22, s[2:3], v18, v2, s[2:3]
	s_xor_b64 s[34:35], vcc, -1
	s_waitcnt lgkmcnt(0)
	s_barrier
	s_branch .LBB15_10
.LBB15_8:                               ;   in Loop: Header=BB15_10 Depth=2
	s_or_b64 exec, exec, s[2:3]
	s_add_i32 s39, s39, -1
	s_add_i32 s40, s40, -16
	s_cmp_eq_u32 s39, -1
	s_cselect_b64 s[2:3], -1, 0
.LBB15_9:                               ;   in Loop: Header=BB15_10 Depth=2
	s_and_b64 vcc, exec, s[2:3]
	s_cbranch_vccnz .LBB15_19
.LBB15_10:                              ;   Parent Loop BB15_5 Depth=1
                                        ; =>  This Inner Loop Header: Depth=2
	s_add_i32 s41, s11, s39
	s_addk_i32 s41, 0xfe01
	s_cmp_lt_i32 s41, 0
	s_mov_b64 s[2:3], -1
	s_cbranch_scc1 .LBB15_9
; %bb.11:                               ;   in Loop: Header=BB15_10 Depth=2
	v_add_u32_e32 v13, s39, v16
	v_cmp_eq_u32_e32 vcc, 0, v13
	s_and_b64 s[36:37], s[30:31], vcc
	s_and_saveexec_b64 s[2:3], s[36:37]
	s_cbranch_execz .LBB15_17
; %bb.12:                               ;   in Loop: Header=BB15_10 Depth=2
	s_mul_i32 s36, s17, s41
	s_mul_hi_u32 s37, s16, s41
	s_add_i32 s37, s37, s36
	s_mul_i32 s36, s16, s41
	s_lshl_b64 s[36:37], s[36:37], 4
	s_add_u32 s36, s4, s36
	s_addc_u32 s37, s5, s37
	v_mov_b32_e32 v1, s36
	v_mov_b32_e32 v2, s37
	flat_load_dwordx4 v[5:8], v[1:2]
	ds_read_b128 v[1:4], v15
                                        ; implicit-def: $vgpr9_vgpr10
	s_waitcnt vmcnt(0) lgkmcnt(0)
	v_cmp_ngt_f64_e64 s[36:37], |v[5:6]|, |v[7:8]|
	s_and_saveexec_b64 s[42:43], s[36:37]
	s_xor_b64 s[36:37], exec, s[42:43]
	s_cbranch_execz .LBB15_14
; %bb.13:                               ;   in Loop: Header=BB15_10 Depth=2
	v_div_scale_f64 v[9:10], s[42:43], v[7:8], v[7:8], v[5:6]
	v_rcp_f64_e32 v[11:12], v[9:10]
	v_fma_f64 v[23:24], -v[9:10], v[11:12], 1.0
	v_fma_f64 v[11:12], v[11:12], v[23:24], v[11:12]
	v_div_scale_f64 v[23:24], vcc, v[5:6], v[7:8], v[5:6]
	v_fma_f64 v[25:26], -v[9:10], v[11:12], 1.0
	v_fma_f64 v[11:12], v[11:12], v[25:26], v[11:12]
	v_mul_f64 v[25:26], v[23:24], v[11:12]
	v_fma_f64 v[9:10], -v[9:10], v[25:26], v[23:24]
	v_div_fmas_f64 v[9:10], v[9:10], v[11:12], v[25:26]
	v_div_fixup_f64 v[9:10], v[9:10], v[7:8], v[5:6]
	v_fma_f64 v[5:6], v[5:6], v[9:10], v[7:8]
	v_div_scale_f64 v[7:8], s[42:43], v[5:6], v[5:6], 1.0
	v_rcp_f64_e32 v[11:12], v[7:8]
	v_fma_f64 v[23:24], -v[7:8], v[11:12], 1.0
	v_fma_f64 v[11:12], v[11:12], v[23:24], v[11:12]
	v_div_scale_f64 v[23:24], vcc, 1.0, v[5:6], 1.0
	v_fma_f64 v[25:26], -v[7:8], v[11:12], 1.0
	v_fma_f64 v[11:12], v[11:12], v[25:26], v[11:12]
	v_mul_f64 v[25:26], v[23:24], v[11:12]
	v_fma_f64 v[7:8], -v[7:8], v[25:26], v[23:24]
	v_div_fmas_f64 v[7:8], v[7:8], v[11:12], v[25:26]
	v_fma_f64 v[11:12], v[9:10], v[1:2], v[3:4]
	v_fma_f64 v[1:2], v[9:10], v[3:4], -v[1:2]
	v_div_fixup_f64 v[5:6], v[7:8], v[5:6], 1.0
	v_mul_f64 v[9:10], v[11:12], v[5:6]
	v_mul_f64 v[11:12], v[5:6], v[1:2]
                                        ; implicit-def: $vgpr5_vgpr6
                                        ; implicit-def: $vgpr3_vgpr4
.LBB15_14:                              ;   in Loop: Header=BB15_10 Depth=2
	s_andn2_saveexec_b64 s[36:37], s[36:37]
	s_cbranch_execz .LBB15_16
; %bb.15:                               ;   in Loop: Header=BB15_10 Depth=2
	v_div_scale_f64 v[9:10], s[42:43], v[5:6], v[5:6], v[7:8]
	v_rcp_f64_e32 v[11:12], v[9:10]
	v_fma_f64 v[23:24], -v[9:10], v[11:12], 1.0
	v_fma_f64 v[11:12], v[11:12], v[23:24], v[11:12]
	v_div_scale_f64 v[23:24], vcc, v[7:8], v[5:6], v[7:8]
	v_fma_f64 v[25:26], -v[9:10], v[11:12], 1.0
	v_fma_f64 v[11:12], v[11:12], v[25:26], v[11:12]
	v_mul_f64 v[25:26], v[23:24], v[11:12]
	v_fma_f64 v[9:10], -v[9:10], v[25:26], v[23:24]
	v_div_fmas_f64 v[9:10], v[9:10], v[11:12], v[25:26]
	v_div_fixup_f64 v[9:10], v[9:10], v[5:6], v[7:8]
	v_fma_f64 v[5:6], v[7:8], v[9:10], v[5:6]
	v_div_scale_f64 v[7:8], s[42:43], v[5:6], v[5:6], 1.0
	v_rcp_f64_e32 v[11:12], v[7:8]
	v_fma_f64 v[23:24], -v[7:8], v[11:12], 1.0
	v_fma_f64 v[11:12], v[11:12], v[23:24], v[11:12]
	v_div_scale_f64 v[23:24], vcc, 1.0, v[5:6], 1.0
	v_fma_f64 v[25:26], -v[7:8], v[11:12], 1.0
	v_fma_f64 v[11:12], v[11:12], v[25:26], v[11:12]
	v_mul_f64 v[25:26], v[23:24], v[11:12]
	v_fma_f64 v[7:8], -v[7:8], v[25:26], v[23:24]
	v_div_fmas_f64 v[7:8], v[7:8], v[11:12], v[25:26]
	v_fma_f64 v[11:12], v[9:10], v[3:4], v[1:2]
	v_fma_f64 v[1:2], -v[9:10], v[1:2], v[3:4]
	v_div_fixup_f64 v[5:6], v[7:8], v[5:6], 1.0
	v_mul_f64 v[9:10], v[5:6], v[11:12]
	v_mul_f64 v[11:12], v[1:2], v[5:6]
.LBB15_16:                              ;   in Loop: Header=BB15_10 Depth=2
	s_or_b64 exec, exec, s[36:37]
	ds_write_b128 v15, v[9:12]
.LBB15_17:                              ;   in Loop: Header=BB15_10 Depth=2
	s_or_b64 exec, exec, s[2:3]
	v_cmp_gt_u32_e32 vcc, s39, v0
	v_cmp_le_i32_e64 s[2:3], s41, v20
	s_and_b64 s[36:37], s[34:35], vcc
	s_and_b64 s[36:37], s[36:37], s[2:3]
	s_waitcnt lgkmcnt(0)
	s_barrier
	s_and_saveexec_b64 s[2:3], s[36:37]
	s_cbranch_execz .LBB15_8
; %bb.18:                               ;   in Loop: Header=BB15_10 Depth=2
	v_lshlrev_b64 v[1:2], 4, v[13:14]
	v_mov_b32_e32 v5, s40
	v_add_co_u32_e32 v1, vcc, v21, v1
	v_addc_co_u32_e32 v2, vcc, v22, v2, vcc
	flat_load_dwordx4 v[1:4], v[1:2]
	ds_read_b128 v[5:8], v5
	s_waitcnt vmcnt(0) lgkmcnt(0)
	v_mul_f64 v[9:10], v[3:4], v[7:8]
	v_mul_f64 v[7:8], v[1:2], v[7:8]
	v_fma_f64 v[9:10], v[1:2], v[5:6], -v[9:10]
	v_fma_f64 v[5:6], v[3:4], v[5:6], v[7:8]
	ds_read_b128 v[1:4], v15
	s_waitcnt lgkmcnt(0)
	v_add_f64 v[1:2], v[1:2], -v[9:10]
	v_add_f64 v[3:4], v[3:4], -v[5:6]
	ds_write_b128 v15, v[1:4]
	s_branch .LBB15_8
.LBB15_19:                              ;   in Loop: Header=BB15_5 Depth=1
	s_add_i32 s45, s38, 0xfffffe00
	s_cmp_lt_i32 s38, 1
	s_cselect_b64 s[2:3], -1, 0
	s_and_b64 vcc, exec, s[2:3]
	s_waitcnt lgkmcnt(0)
	s_barrier
	s_cbranch_vccnz .LBB15_39
; %bb.20:                               ;   in Loop: Header=BB15_5 Depth=1
	v_mad_i64_i32 v[1:2], s[34:35], v17, -16, s[26:27]
	s_mov_b64 s[34:35], 0
	v_mov_b32_e32 v9, v17
	v_mov_b32_e32 v10, v0
	s_mov_b32 s46, s45
                                        ; implicit-def: $sgpr36_sgpr37
	s_branch .LBB15_23
.LBB15_21:                              ;   in Loop: Header=BB15_23 Depth=2
	v_mad_u64_u32 v[7:8], s[40:41], s6, v11, 0
	s_add_i32 s42, s46, 0xfffffe00
	s_cmp_lt_i32 s46, 1
	v_mad_u64_u32 v[11:12], s[40:41], s7, v11, v[8:9]
	v_mov_b32_e32 v12, s33
	s_cselect_b64 s[40:41], -1, 0
	v_mov_b32_e32 v8, v11
	v_lshlrev_b64 v[7:8], 4, v[7:8]
	s_andn2_b64 s[36:37], s[36:37], exec
	v_add_co_u32_e32 v11, vcc, s8, v7
	v_addc_co_u32_e32 v12, vcc, v12, v8, vcc
	flat_load_dwordx4 v[20:23], v[11:12]
	v_add_co_u32_e32 v1, vcc, 0x2000, v1
	s_and_b64 s[40:41], s[40:41], exec
	v_add_u32_e32 v9, 0xfffffe00, v9
	v_addc_co_u32_e32 v2, vcc, 0, v2, vcc
	s_or_b64 s[36:37], s[36:37], s[40:41]
	s_mov_b32 s46, s42
	s_waitcnt vmcnt(0) lgkmcnt(0)
	v_add_f64 v[5:6], v[20:21], -v[5:6]
	v_add_f64 v[7:8], v[22:23], -v[3:4]
	flat_store_dwordx4 v[11:12], v[5:8]
.LBB15_22:                              ;   in Loop: Header=BB15_23 Depth=2
	s_or_b64 exec, exec, s[38:39]
	s_and_b64 s[38:39], exec, s[36:37]
	s_or_b64 s[34:35], s[38:39], s[34:35]
	s_andn2_b64 exec, exec, s[34:35]
	s_cbranch_execz .LBB15_38
.LBB15_23:                              ;   Parent Loop BB15_5 Depth=1
                                        ; =>  This Loop Header: Depth=2
                                        ;       Child Loop BB15_26 Depth 3
	v_add_u32_e32 v11, s46, v0
	v_cmp_lt_i32_e32 vcc, -1, v11
	s_or_b64 s[36:37], s[36:37], exec
	s_and_saveexec_b64 s[38:39], vcc
	s_cbranch_execz .LBB15_22
; %bb.24:                               ;   in Loop: Header=BB15_23 Depth=2
	v_mad_u64_u32 v[7:8], s[40:41], s28, v9, v[1:2]
	v_add_u32_e32 v12, s10, v11
	v_add_u32_e32 v13, 0xfffffdff, v10
	v_mov_b32_e32 v3, v8
	v_mad_u64_u32 v[5:6], s[40:41], s29, v9, v[3:4]
	v_mov_b32_e32 v3, 0
	v_add_u32_e32 v10, 0xfffffe00, v10
	v_mov_b32_e32 v8, v5
	v_mov_b32_e32 v5, 0
	;; [unrolled: 1-line block ×3, first 2 shown]
	s_mov_b32 s47, 0
	v_mov_b32_e32 v6, 0
	s_movk_i32 s48, 0x6000
	s_branch .LBB15_26
.LBB15_25:                              ;   in Loop: Header=BB15_26 Depth=3
	s_or_b64 exec, exec, s[40:41]
	s_add_i32 s47, s47, 2
	s_add_i32 s48, s48, 32
	v_add_co_u32_e32 v7, vcc, 32, v7
	s_cmpk_eq_i32 s47, 0x200
	v_addc_co_u32_e32 v8, vcc, 0, v8, vcc
	s_cbranch_scc1 .LBB15_21
.LBB15_26:                              ;   Parent Loop BB15_5 Depth=1
                                        ;     Parent Loop BB15_23 Depth=2
                                        ; =>    This Inner Loop Header: Depth=3
	v_cmp_ne_u32_e32 vcc, s47, v10
	s_add_i32 s49, s44, s47
	s_or_b64 s[40:41], s[30:31], vcc
	s_and_saveexec_b64 s[42:43], s[40:41]
	s_xor_b64 s[40:41], exec, s[42:43]
	s_cbranch_execz .LBB15_30
; %bb.27:                               ;   in Loop: Header=BB15_26 Depth=3
	s_add_i32 s42, s49, 0xfffffe00
	v_cmp_le_i32_e32 vcc, s42, v12
	s_and_saveexec_b64 s[42:43], vcc
	s_cbranch_execz .LBB15_29
; %bb.28:                               ;   in Loop: Header=BB15_26 Depth=3
	flat_load_dwordx4 v[20:23], v[7:8]
	v_mov_b32_e32 v24, s48
	ds_read_b128 v[24:27], v24
	s_waitcnt vmcnt(0) lgkmcnt(0)
	v_mul_f64 v[28:29], v[22:23], v[26:27]
	v_mul_f64 v[26:27], v[20:21], v[26:27]
	v_fma_f64 v[20:21], v[20:21], v[24:25], -v[28:29]
	v_fma_f64 v[22:23], v[22:23], v[24:25], v[26:27]
	v_add_f64 v[5:6], v[5:6], v[20:21]
	v_add_f64 v[3:4], v[3:4], v[22:23]
.LBB15_29:                              ;   in Loop: Header=BB15_26 Depth=3
	s_or_b64 exec, exec, s[42:43]
.LBB15_30:                              ;   in Loop: Header=BB15_26 Depth=3
	s_andn2_saveexec_b64 s[40:41], s[40:41]
	s_cbranch_execz .LBB15_32
; %bb.31:                               ;   in Loop: Header=BB15_26 Depth=3
	v_mov_b32_e32 v20, s48
	ds_read_b128 v[20:23], v20
	s_waitcnt lgkmcnt(0)
	v_add_f64 v[5:6], v[5:6], v[20:21]
	v_add_f64 v[3:4], v[3:4], v[22:23]
.LBB15_32:                              ;   in Loop: Header=BB15_26 Depth=3
	s_or_b64 exec, exec, s[40:41]
	v_cmp_ne_u32_e32 vcc, s47, v13
	s_or_b64 s[40:41], s[30:31], vcc
	s_and_saveexec_b64 s[42:43], s[40:41]
	s_xor_b64 s[40:41], exec, s[42:43]
	s_cbranch_execz .LBB15_36
; %bb.33:                               ;   in Loop: Header=BB15_26 Depth=3
	s_addk_i32 s49, 0xfe01
	v_cmp_le_i32_e32 vcc, s49, v12
	s_and_saveexec_b64 s[42:43], vcc
	s_cbranch_execz .LBB15_35
; %bb.34:                               ;   in Loop: Header=BB15_26 Depth=3
	flat_load_dwordx4 v[20:23], v[7:8] offset:16
	v_mov_b32_e32 v24, s48
	ds_read_b128 v[24:27], v24 offset:16
	s_waitcnt vmcnt(0) lgkmcnt(0)
	v_mul_f64 v[28:29], v[22:23], v[26:27]
	v_mul_f64 v[26:27], v[20:21], v[26:27]
	v_fma_f64 v[20:21], v[20:21], v[24:25], -v[28:29]
	v_fma_f64 v[22:23], v[22:23], v[24:25], v[26:27]
	v_add_f64 v[5:6], v[5:6], v[20:21]
	v_add_f64 v[3:4], v[3:4], v[22:23]
.LBB15_35:                              ;   in Loop: Header=BB15_26 Depth=3
	s_or_b64 exec, exec, s[42:43]
.LBB15_36:                              ;   in Loop: Header=BB15_26 Depth=3
	s_andn2_saveexec_b64 s[40:41], s[40:41]
	s_cbranch_execz .LBB15_25
; %bb.37:                               ;   in Loop: Header=BB15_26 Depth=3
	v_mov_b32_e32 v20, s48
	ds_read_b128 v[20:23], v20 offset:16
	s_waitcnt lgkmcnt(0)
	v_add_f64 v[5:6], v[5:6], v[20:21]
	v_add_f64 v[3:4], v[3:4], v[22:23]
	s_branch .LBB15_25
.LBB15_38:                              ;   in Loop: Header=BB15_5 Depth=1
	s_or_b64 exec, exec, s[34:35]
.LBB15_39:                              ;   in Loop: Header=BB15_5 Depth=1
	s_and_saveexec_b64 s[34:35], s[0:1]
	s_cbranch_execz .LBB15_4
; %bb.40:                               ;   in Loop: Header=BB15_5 Depth=1
	v_mad_u64_u32 v[5:6], s[0:1], s6, v19, 0
	v_mov_b32_e32 v1, v6
	v_mad_u64_u32 v[6:7], s[0:1], s7, v19, v[1:2]
	ds_read2_b64 v[1:4], v15 offset1:1
	v_mov_b32_e32 v7, s33
	v_lshlrev_b64 v[5:6], 4, v[5:6]
	v_add_co_u32_e32 v5, vcc, s8, v5
	v_addc_co_u32_e32 v6, vcc, v7, v6, vcc
	s_waitcnt lgkmcnt(0)
	flat_store_dwordx4 v[5:6], v[1:4]
	s_branch .LBB15_4
.LBB15_41:
	s_mov_b64 s[0:1], 0
.LBB15_42:
	s_andn2_b64 vcc, exec, s[0:1]
	s_cbranch_vccnz .LBB15_82
; %bb.43:
	s_andn2_b64 vcc, exec, s[22:23]
	s_cbranch_vccnz .LBB15_82
; %bb.44:
	s_ashr_i32 s11, s10, 31
	s_lshl_b64 s[26:27], s[16:17], 4
	s_add_u32 s28, s26, -16
	s_addc_u32 s30, s27, -1
	s_lshl_b64 s[0:1], s[10:11], 4
	s_add_u32 s2, s12, s0
	s_addc_u32 s3, s13, s1
	s_add_u32 s2, s2, s20
	s_addc_u32 s3, s3, s21
	v_mov_b32_e32 v1, s2
	v_mov_b32_e32 v2, s3
	v_mad_u64_u32 v[13:14], s[28:29], s28, v0, v[1:2]
	v_mov_b32_e32 v1, 0x2000
	v_lshl_or_b32 v21, v0, 4, v1
	v_mov_b32_e32 v1, v14
	v_mad_u64_u32 v[1:2], s[28:29], s30, v0, v[1:2]
	v_or_b32_e32 v22, 0x200, v0
	v_mad_u64_u32 v[2:3], s[28:29], s16, v22, 0
	v_mov_b32_e32 v14, v1
	s_lshl_b64 s[28:29], s[16:17], 13
	v_mov_b32_e32 v1, v3
	s_add_u32 s0, s20, s0
	v_mad_u64_u32 v[3:4], s[30:31], s17, v22, v[1:2]
	s_addc_u32 s1, s21, s1
	s_add_u32 s30, s12, s0
	s_addc_u32 s31, s13, s1
	v_lshlrev_b64 v[1:2], 4, v[2:3]
	s_add_u32 s11, s28, 0x2000
	s_addc_u32 s46, s29, 0
	v_mov_b32_e32 v3, s3
	v_add_co_u32_e32 v15, vcc, s2, v1
	s_add_u32 s47, s28, 0xffffe000
	v_addc_co_u32_e32 v16, vcc, v3, v2, vcc
	s_addc_u32 s48, s29, -1
	s_mov_b32 s49, 0
	s_xor_b64 s[34:35], s[18:19], -1
	s_branch .LBB15_46
.LBB15_45:                              ;   in Loop: Header=BB15_46 Depth=1
	s_or_b64 exec, exec, s[36:37]
	v_mov_b32_e32 v1, s29
	v_add_co_u32_e32 v13, vcc, s28, v13
	v_addc_co_u32_e32 v14, vcc, v14, v1, vcc
	v_mov_b32_e32 v1, s46
	v_add_co_u32_e32 v15, vcc, s11, v15
	s_add_u32 s30, s30, s28
	v_addc_co_u32_e32 v16, vcc, v16, v1, vcc
	s_addc_u32 s31, s31, s29
	v_add_u32_e32 v22, 0x200, v22
	s_and_b64 vcc, exec, s[2:3]
	s_mov_b32 s49, s50
	s_waitcnt vmcnt(0) lgkmcnt(0)
	s_barrier
	s_cbranch_vccnz .LBB15_82
.LBB15_46:                              ; =>This Loop Header: Depth=1
                                        ;     Child Loop BB15_51 Depth 2
                                        ;     Child Loop BB15_64 Depth 2
                                        ;       Child Loop BB15_67 Depth 3
	v_add_u32_e32 v23, s49, v0
	v_cmp_le_i32_e32 vcc, s9, v23
	v_cmp_gt_i32_e64 s[0:1], s9, v23
	s_and_saveexec_b64 s[36:37], s[0:1]
	s_cbranch_execz .LBB15_48
; %bb.47:                               ;   in Loop: Header=BB15_46 Depth=1
	v_mad_u64_u32 v[1:2], s[2:3], s6, v23, 0
	v_mad_u64_u32 v[2:3], s[2:3], s7, v23, v[2:3]
	v_mov_b32_e32 v3, s33
	v_lshlrev_b64 v[1:2], 4, v[1:2]
	v_add_co_u32_e64 v1, s[2:3], s8, v1
	v_addc_co_u32_e64 v2, s[2:3], v3, v2, s[2:3]
	flat_load_dwordx4 v[1:4], v[1:2]
	s_waitcnt vmcnt(0) lgkmcnt(0)
	ds_write2_b64 v21, v[1:2], v[3:4] offset1:1
.LBB15_48:                              ;   in Loop: Header=BB15_46 Depth=1
	s_or_b64 exec, exec, s[36:37]
	v_mov_b32_e32 v17, s30
	v_mov_b32_e32 v20, v14
	v_subrev_u32_e32 v24, s10, v23
	s_mov_b32 s40, 0
	s_movk_i32 s41, 0x2000
	v_mov_b32_e32 v18, s31
	s_xor_b64 s[36:37], vcc, -1
	v_mov_b32_e32 v19, v13
	s_waitcnt lgkmcnt(0)
	s_barrier
	s_branch .LBB15_51
.LBB15_49:                              ;   in Loop: Header=BB15_51 Depth=2
	s_or_b64 exec, exec, s[2:3]
	v_add_co_u32_e32 v19, vcc, 16, v19
	s_add_i32 s40, s40, 1
	s_add_i32 s41, s41, 16
	v_addc_co_u32_e32 v20, vcc, 0, v20, vcc
	v_mov_b32_e32 v1, s27
	v_add_co_u32_e32 v17, vcc, s26, v17
	s_cmpk_eq_i32 s40, 0x200
	v_addc_co_u32_e32 v18, vcc, v18, v1, vcc
	s_cselect_b64 s[2:3], -1, 0
.LBB15_50:                              ;   in Loop: Header=BB15_51 Depth=2
	s_and_b64 vcc, exec, s[2:3]
	s_cbranch_vccnz .LBB15_60
.LBB15_51:                              ;   Parent Loop BB15_46 Depth=1
                                        ; =>  This Inner Loop Header: Depth=2
	s_add_i32 s42, s49, s40
	s_cmp_ge_i32 s42, s9
	s_mov_b64 s[2:3], -1
	s_cbranch_scc1 .LBB15_50
; %bb.52:                               ;   in Loop: Header=BB15_51 Depth=2
	v_cmp_eq_u32_e32 vcc, s40, v0
	s_and_b64 s[38:39], s[34:35], vcc
	s_and_saveexec_b64 s[2:3], s[38:39]
	s_cbranch_execz .LBB15_58
; %bb.53:                               ;   in Loop: Header=BB15_51 Depth=2
	flat_load_dwordx4 v[5:8], v[17:18]
	ds_read_b128 v[1:4], v21
                                        ; implicit-def: $vgpr9_vgpr10
	s_waitcnt vmcnt(0) lgkmcnt(0)
	v_cmp_ngt_f64_e64 s[38:39], |v[5:6]|, |v[7:8]|
	s_and_saveexec_b64 s[44:45], s[38:39]
	s_xor_b64 s[38:39], exec, s[44:45]
	s_cbranch_execz .LBB15_55
; %bb.54:                               ;   in Loop: Header=BB15_51 Depth=2
	v_div_scale_f64 v[9:10], s[44:45], v[7:8], v[7:8], v[5:6]
	v_rcp_f64_e32 v[11:12], v[9:10]
	v_fma_f64 v[25:26], -v[9:10], v[11:12], 1.0
	v_fma_f64 v[11:12], v[11:12], v[25:26], v[11:12]
	v_div_scale_f64 v[25:26], vcc, v[5:6], v[7:8], v[5:6]
	v_fma_f64 v[27:28], -v[9:10], v[11:12], 1.0
	v_fma_f64 v[11:12], v[11:12], v[27:28], v[11:12]
	v_mul_f64 v[27:28], v[25:26], v[11:12]
	v_fma_f64 v[9:10], -v[9:10], v[27:28], v[25:26]
	v_div_fmas_f64 v[9:10], v[9:10], v[11:12], v[27:28]
	v_div_fixup_f64 v[9:10], v[9:10], v[7:8], v[5:6]
	v_fma_f64 v[5:6], v[5:6], v[9:10], v[7:8]
	v_div_scale_f64 v[7:8], s[44:45], v[5:6], v[5:6], 1.0
	v_rcp_f64_e32 v[11:12], v[7:8]
	v_fma_f64 v[25:26], -v[7:8], v[11:12], 1.0
	v_fma_f64 v[11:12], v[11:12], v[25:26], v[11:12]
	v_div_scale_f64 v[25:26], vcc, 1.0, v[5:6], 1.0
	v_fma_f64 v[27:28], -v[7:8], v[11:12], 1.0
	v_fma_f64 v[11:12], v[11:12], v[27:28], v[11:12]
	v_mul_f64 v[27:28], v[25:26], v[11:12]
	v_fma_f64 v[7:8], -v[7:8], v[27:28], v[25:26]
	v_div_fmas_f64 v[7:8], v[7:8], v[11:12], v[27:28]
	v_fma_f64 v[11:12], v[9:10], v[1:2], v[3:4]
	v_fma_f64 v[1:2], v[9:10], v[3:4], -v[1:2]
	v_div_fixup_f64 v[5:6], v[7:8], v[5:6], 1.0
	v_mul_f64 v[9:10], v[11:12], v[5:6]
	v_mul_f64 v[11:12], v[5:6], v[1:2]
                                        ; implicit-def: $vgpr5_vgpr6
                                        ; implicit-def: $vgpr3_vgpr4
.LBB15_55:                              ;   in Loop: Header=BB15_51 Depth=2
	s_andn2_saveexec_b64 s[38:39], s[38:39]
	s_cbranch_execz .LBB15_57
; %bb.56:                               ;   in Loop: Header=BB15_51 Depth=2
	v_div_scale_f64 v[9:10], s[44:45], v[5:6], v[5:6], v[7:8]
	v_rcp_f64_e32 v[11:12], v[9:10]
	v_fma_f64 v[25:26], -v[9:10], v[11:12], 1.0
	v_fma_f64 v[11:12], v[11:12], v[25:26], v[11:12]
	v_div_scale_f64 v[25:26], vcc, v[7:8], v[5:6], v[7:8]
	v_fma_f64 v[27:28], -v[9:10], v[11:12], 1.0
	v_fma_f64 v[11:12], v[11:12], v[27:28], v[11:12]
	v_mul_f64 v[27:28], v[25:26], v[11:12]
	v_fma_f64 v[9:10], -v[9:10], v[27:28], v[25:26]
	v_div_fmas_f64 v[9:10], v[9:10], v[11:12], v[27:28]
	v_div_fixup_f64 v[9:10], v[9:10], v[5:6], v[7:8]
	v_fma_f64 v[5:6], v[7:8], v[9:10], v[5:6]
	v_div_scale_f64 v[7:8], s[44:45], v[5:6], v[5:6], 1.0
	v_rcp_f64_e32 v[11:12], v[7:8]
	v_fma_f64 v[25:26], -v[7:8], v[11:12], 1.0
	v_fma_f64 v[11:12], v[11:12], v[25:26], v[11:12]
	v_div_scale_f64 v[25:26], vcc, 1.0, v[5:6], 1.0
	v_fma_f64 v[27:28], -v[7:8], v[11:12], 1.0
	v_fma_f64 v[11:12], v[11:12], v[27:28], v[11:12]
	v_mul_f64 v[27:28], v[25:26], v[11:12]
	v_fma_f64 v[7:8], -v[7:8], v[27:28], v[25:26]
	v_div_fmas_f64 v[7:8], v[7:8], v[11:12], v[27:28]
	v_fma_f64 v[11:12], v[9:10], v[3:4], v[1:2]
	v_fma_f64 v[1:2], -v[9:10], v[1:2], v[3:4]
	v_div_fixup_f64 v[5:6], v[7:8], v[5:6], 1.0
	v_mul_f64 v[9:10], v[5:6], v[11:12]
	v_mul_f64 v[11:12], v[1:2], v[5:6]
.LBB15_57:                              ;   in Loop: Header=BB15_51 Depth=2
	s_or_b64 exec, exec, s[38:39]
	ds_write_b128 v21, v[9:12]
.LBB15_58:                              ;   in Loop: Header=BB15_51 Depth=2
	s_or_b64 exec, exec, s[2:3]
	v_cmp_lt_u32_e32 vcc, s40, v0
	v_cmp_ge_i32_e64 s[2:3], s42, v24
	s_and_b64 s[38:39], s[36:37], vcc
	s_and_b64 s[38:39], s[38:39], s[2:3]
	s_waitcnt lgkmcnt(0)
	s_barrier
	s_and_saveexec_b64 s[2:3], s[38:39]
	s_cbranch_execz .LBB15_49
; %bb.59:                               ;   in Loop: Header=BB15_51 Depth=2
	flat_load_dwordx4 v[1:4], v[19:20]
	v_mov_b32_e32 v5, s41
	ds_read_b128 v[5:8], v5
	s_waitcnt vmcnt(0) lgkmcnt(0)
	v_mul_f64 v[9:10], v[3:4], v[7:8]
	v_mul_f64 v[7:8], v[1:2], v[7:8]
	v_fma_f64 v[9:10], v[1:2], v[5:6], -v[9:10]
	v_fma_f64 v[5:6], v[3:4], v[5:6], v[7:8]
	ds_read_b128 v[1:4], v21
	s_waitcnt lgkmcnt(0)
	v_add_f64 v[1:2], v[1:2], -v[9:10]
	v_add_f64 v[3:4], v[3:4], -v[5:6]
	ds_write_b128 v21, v[1:4]
	s_branch .LBB15_49
.LBB15_60:                              ;   in Loop: Header=BB15_46 Depth=1
	s_add_i32 s50, s49, 0x200
	s_cmp_ge_i32 s50, s9
	s_cselect_b64 s[2:3], -1, 0
	s_and_b64 vcc, exec, s[2:3]
	s_waitcnt lgkmcnt(0)
	s_barrier
	s_cbranch_vccnz .LBB15_80
; %bb.61:                               ;   in Loop: Header=BB15_46 Depth=1
	v_mad_i64_i32 v[1:2], s[36:37], v22, -16, v[15:16]
	s_mov_b64 s[36:37], 0
	v_mov_b32_e32 v9, v0
	s_mov_b32 s51, s50
                                        ; implicit-def: $sgpr38_sgpr39
	s_branch .LBB15_64
.LBB15_62:                              ;   in Loop: Header=BB15_64 Depth=2
	v_mad_u64_u32 v[7:8], s[42:43], s6, v10, 0
	s_addk_i32 s51, 0x200
	s_cmp_ge_i32 s51, s9
	v_mad_u64_u32 v[10:11], s[42:43], s7, v10, v[8:9]
	v_mov_b32_e32 v11, s33
	s_cselect_b64 s[42:43], -1, 0
	v_mov_b32_e32 v8, v10
	v_lshlrev_b64 v[7:8], 4, v[7:8]
	v_mov_b32_e32 v12, s48
	v_add_co_u32_e32 v10, vcc, s8, v7
	v_addc_co_u32_e32 v11, vcc, v11, v8, vcc
	flat_load_dwordx4 v[17:20], v[10:11]
	v_add_co_u32_e32 v1, vcc, s47, v1
	s_andn2_b64 s[38:39], s[38:39], exec
	s_and_b64 s[42:43], s[42:43], exec
	v_addc_co_u32_e32 v2, vcc, v2, v12, vcc
	s_or_b64 s[38:39], s[38:39], s[42:43]
	s_waitcnt vmcnt(0) lgkmcnt(0)
	v_add_f64 v[5:6], v[17:18], -v[5:6]
	v_add_f64 v[7:8], v[19:20], -v[3:4]
	flat_store_dwordx4 v[10:11], v[5:8]
.LBB15_63:                              ;   in Loop: Header=BB15_64 Depth=2
	s_or_b64 exec, exec, s[40:41]
	s_and_b64 s[40:41], exec, s[38:39]
	s_or_b64 s[36:37], s[40:41], s[36:37]
	s_andn2_b64 exec, exec, s[36:37]
	s_cbranch_execz .LBB15_79
.LBB15_64:                              ;   Parent Loop BB15_46 Depth=1
                                        ; =>  This Loop Header: Depth=2
                                        ;       Child Loop BB15_67 Depth 3
	v_add_u32_e32 v10, s51, v0
	v_cmp_gt_i32_e32 vcc, s9, v10
	s_or_b64 s[38:39], s[38:39], exec
	s_and_saveexec_b64 s[40:41], vcc
	s_cbranch_execz .LBB15_63
; %bb.65:                               ;   in Loop: Header=BB15_64 Depth=2
	v_mov_b32_e32 v3, 0
	v_mov_b32_e32 v5, 0
	;; [unrolled: 1-line block ×3, first 2 shown]
	v_subrev_u32_e32 v11, s10, v10
	v_add_u32_e32 v12, 0x1ff, v9
	v_add_u32_e32 v9, 0x200, v9
	v_mov_b32_e32 v4, 0
	s_mov_b32 s52, 0
	s_movk_i32 s53, 0x2000
	v_mov_b32_e32 v6, 0
	v_mov_b32_e32 v7, v1
	s_branch .LBB15_67
.LBB15_66:                              ;   in Loop: Header=BB15_67 Depth=3
	s_or_b64 exec, exec, s[42:43]
	s_add_i32 s52, s52, 2
	s_add_i32 s53, s53, 32
	v_add_co_u32_e32 v7, vcc, 32, v7
	s_cmpk_eq_i32 s52, 0x200
	v_addc_co_u32_e32 v8, vcc, 0, v8, vcc
	s_cbranch_scc1 .LBB15_62
.LBB15_67:                              ;   Parent Loop BB15_46 Depth=1
                                        ;     Parent Loop BB15_64 Depth=2
                                        ; =>    This Inner Loop Header: Depth=3
	v_cmp_ne_u32_e32 vcc, s52, v9
	s_add_i32 s54, s49, s52
	s_or_b64 s[42:43], s[34:35], vcc
	s_and_saveexec_b64 s[44:45], s[42:43]
	s_xor_b64 s[42:43], exec, s[44:45]
	s_cbranch_execz .LBB15_71
; %bb.68:                               ;   in Loop: Header=BB15_67 Depth=3
	s_cmp_lt_i32 s54, s9
	s_cselect_b64 s[44:45], -1, 0
	v_cmp_ge_i32_e32 vcc, s54, v11
	s_and_b64 s[56:57], s[44:45], vcc
	s_and_saveexec_b64 s[44:45], s[56:57]
	s_cbranch_execz .LBB15_70
; %bb.69:                               ;   in Loop: Header=BB15_67 Depth=3
	flat_load_dwordx4 v[17:20], v[7:8]
	v_mov_b32_e32 v24, s53
	ds_read_b128 v[24:27], v24
	s_waitcnt vmcnt(0) lgkmcnt(0)
	v_mul_f64 v[28:29], v[19:20], v[26:27]
	v_mul_f64 v[26:27], v[17:18], v[26:27]
	v_fma_f64 v[17:18], v[17:18], v[24:25], -v[28:29]
	v_fma_f64 v[19:20], v[19:20], v[24:25], v[26:27]
	v_add_f64 v[5:6], v[5:6], v[17:18]
	v_add_f64 v[3:4], v[3:4], v[19:20]
.LBB15_70:                              ;   in Loop: Header=BB15_67 Depth=3
	s_or_b64 exec, exec, s[44:45]
.LBB15_71:                              ;   in Loop: Header=BB15_67 Depth=3
	s_andn2_saveexec_b64 s[42:43], s[42:43]
	s_cbranch_execz .LBB15_73
; %bb.72:                               ;   in Loop: Header=BB15_67 Depth=3
	v_mov_b32_e32 v17, s53
	ds_read_b128 v[17:20], v17
	s_waitcnt lgkmcnt(0)
	v_add_f64 v[5:6], v[5:6], v[17:18]
	v_add_f64 v[3:4], v[3:4], v[19:20]
.LBB15_73:                              ;   in Loop: Header=BB15_67 Depth=3
	s_or_b64 exec, exec, s[42:43]
	v_cmp_ne_u32_e32 vcc, s52, v12
	s_or_b64 s[42:43], s[34:35], vcc
	s_and_saveexec_b64 s[44:45], s[42:43]
	s_xor_b64 s[42:43], exec, s[44:45]
	s_cbranch_execz .LBB15_77
; %bb.74:                               ;   in Loop: Header=BB15_67 Depth=3
	s_add_i32 s54, s54, 1
	s_cmp_lt_i32 s54, s9
	s_cselect_b64 s[44:45], -1, 0
	v_cmp_ge_i32_e32 vcc, s54, v11
	s_and_b64 s[54:55], s[44:45], vcc
	s_and_saveexec_b64 s[44:45], s[54:55]
	s_cbranch_execz .LBB15_76
; %bb.75:                               ;   in Loop: Header=BB15_67 Depth=3
	flat_load_dwordx4 v[17:20], v[7:8] offset:16
	v_mov_b32_e32 v24, s53
	ds_read_b128 v[24:27], v24 offset:16
	s_waitcnt vmcnt(0) lgkmcnt(0)
	v_mul_f64 v[28:29], v[19:20], v[26:27]
	v_mul_f64 v[26:27], v[17:18], v[26:27]
	v_fma_f64 v[17:18], v[17:18], v[24:25], -v[28:29]
	v_fma_f64 v[19:20], v[19:20], v[24:25], v[26:27]
	v_add_f64 v[5:6], v[5:6], v[17:18]
	v_add_f64 v[3:4], v[3:4], v[19:20]
.LBB15_76:                              ;   in Loop: Header=BB15_67 Depth=3
	s_or_b64 exec, exec, s[44:45]
.LBB15_77:                              ;   in Loop: Header=BB15_67 Depth=3
	s_andn2_saveexec_b64 s[42:43], s[42:43]
	s_cbranch_execz .LBB15_66
; %bb.78:                               ;   in Loop: Header=BB15_67 Depth=3
	v_mov_b32_e32 v17, s53
	ds_read_b128 v[17:20], v17 offset:16
	s_waitcnt lgkmcnt(0)
	v_add_f64 v[5:6], v[5:6], v[17:18]
	v_add_f64 v[3:4], v[3:4], v[19:20]
	s_branch .LBB15_66
.LBB15_79:                              ;   in Loop: Header=BB15_46 Depth=1
	s_or_b64 exec, exec, s[36:37]
.LBB15_80:                              ;   in Loop: Header=BB15_46 Depth=1
	s_and_saveexec_b64 s[36:37], s[0:1]
	s_cbranch_execz .LBB15_45
; %bb.81:                               ;   in Loop: Header=BB15_46 Depth=1
	v_mad_u64_u32 v[5:6], s[0:1], s6, v23, 0
	v_mov_b32_e32 v1, v6
	v_mad_u64_u32 v[6:7], s[0:1], s7, v23, v[1:2]
	ds_read2_b64 v[1:4], v21 offset1:1
	v_mov_b32_e32 v7, s33
	v_lshlrev_b64 v[5:6], 4, v[5:6]
	v_add_co_u32_e32 v5, vcc, s8, v5
	v_addc_co_u32_e32 v6, vcc, v7, v6, vcc
	s_waitcnt lgkmcnt(0)
	flat_store_dwordx4 v[5:6], v[1:4]
	s_branch .LBB15_45
.LBB15_82:
	s_mov_b64 s[0:1], 0
.LBB15_83:
	s_andn2_b64 vcc, exec, s[0:1]
	s_cbranch_vccnz .LBB15_165
; %bb.84:
	s_mov_b64 s[0:1], -1
	s_and_b64 vcc, exec, s[24:25]
	s_cbranch_vccz .LBB15_125
; %bb.85:
	s_andn2_b64 vcc, exec, s[22:23]
	s_cbranch_vccnz .LBB15_124
; %bb.86:
	s_add_u32 s0, s12, s20
	s_addc_u32 s1, s13, s21
	s_add_u32 s24, s0, 8
	s_addc_u32 s25, s1, 0
	s_lshl_b64 s[26:27], s[16:17], 13
	s_lshl_b64 s[28:29], s[16:17], 4
	;; [unrolled: 1-line block ×3, first 2 shown]
	s_add_u32 s30, s12, s28
	s_addc_u32 s31, s13, s29
	s_add_u32 s11, s0, 0xffffffe0
	v_lshlrev_b32_e32 v15, 4, v0
	v_or_b32_e32 v16, 0x200, v0
	s_addc_u32 s60, s1, -1
	s_mov_b32 s61, 0
	s_mov_b64 s[34:35], -1
	s_mov_b64 s[36:37], 0
	s_xor_b64 s[38:39], s[18:19], -1
	v_mov_b32_e32 v14, 0
	s_mov_b64 s[40:41], 0
	s_mov_b64 s[42:43], s[4:5]
	s_branch .LBB15_88
.LBB15_87:                              ;   in Loop: Header=BB15_88 Depth=1
	s_or_b64 exec, exec, s[44:45]
	s_add_u32 s24, s24, s26
	s_addc_u32 s25, s25, s27
	s_add_u32 s42, s42, s26
	s_addc_u32 s43, s43, s27
	s_add_u32 s34, s34, 0xfffffe00
	s_addc_u32 s35, s35, -1
	s_add_u32 s40, s40, s26
	s_addc_u32 s41, s41, s27
	s_add_u32 s36, s36, 0xfffffe00
	v_add_u32_e32 v16, 0x200, v16
	s_addc_u32 s37, s37, -1
	s_and_b64 vcc, exec, s[2:3]
	s_mov_b32 s61, s62
	s_waitcnt vmcnt(0) lgkmcnt(0)
	s_barrier
	s_cbranch_vccnz .LBB15_124
.LBB15_88:                              ; =>This Loop Header: Depth=1
                                        ;     Child Loop BB15_92 Depth 2
                                        ;     Child Loop BB15_106 Depth 2
                                        ;       Child Loop BB15_109 Depth 3
	v_add_u32_e32 v17, s61, v0
	v_cmp_le_i32_e32 vcc, s9, v17
	v_cmp_gt_i32_e64 s[0:1], s9, v17
	s_and_saveexec_b64 s[44:45], s[0:1]
	s_cbranch_execz .LBB15_90
; %bb.89:                               ;   in Loop: Header=BB15_88 Depth=1
	v_mad_u64_u32 v[1:2], s[2:3], s6, v17, 0
	v_mad_u64_u32 v[2:3], s[2:3], s7, v17, v[2:3]
	v_mov_b32_e32 v3, s33
	v_lshlrev_b64 v[1:2], 4, v[1:2]
	v_add_co_u32_e64 v1, s[2:3], s8, v1
	v_addc_co_u32_e64 v2, s[2:3], v3, v2, s[2:3]
	flat_load_dwordx4 v[1:4], v[1:2]
	s_waitcnt vmcnt(0) lgkmcnt(0)
	ds_write2_b64 v15, v[1:2], v[3:4] offset1:1
.LBB15_90:                              ;   in Loop: Header=BB15_88 Depth=1
	s_or_b64 exec, exec, s[44:45]
	v_subrev_u32_e32 v18, s10, v17
	s_mov_b32 s52, 0
	s_xor_b64 s[44:45], vcc, -1
	s_mov_b64 s[46:47], s[42:43]
	s_mov_b64 s[48:49], s[24:25]
	v_mov_b32_e32 v13, v0
	s_mov_b32 s53, 0
	s_waitcnt lgkmcnt(0)
	s_barrier
	s_branch .LBB15_92
.LBB15_91:                              ;   in Loop: Header=BB15_92 Depth=2
                                        ; implicit-def: $sgpr53
                                        ; implicit-def: $sgpr52
                                        ; implicit-def: $sgpr48_sgpr49
                                        ; implicit-def: $sgpr46_sgpr47
	s_cbranch_execnz .LBB15_102
.LBB15_92:                              ;   Parent Loop BB15_88 Depth=1
                                        ; =>  This Inner Loop Header: Depth=2
	s_add_i32 s54, s61, s53
	s_cmp_ge_i32 s54, s9
	s_cbranch_scc1 .LBB15_91
; %bb.93:                               ;   in Loop: Header=BB15_92 Depth=2
	v_cmp_eq_u32_e32 vcc, s53, v0
	s_and_b64 s[50:51], s[38:39], vcc
	s_and_saveexec_b64 s[2:3], s[50:51]
	s_cbranch_execz .LBB15_99
; %bb.94:                               ;   in Loop: Header=BB15_92 Depth=2
	v_mov_b32_e32 v2, s49
	v_add_co_u32_e64 v1, vcc, -8, s48
	v_addc_co_u32_e32 v2, vcc, -1, v2, vcc
	flat_load_dwordx4 v[5:8], v[1:2]
	ds_read_b128 v[1:4], v15
                                        ; implicit-def: $vgpr9_vgpr10
	s_waitcnt vmcnt(0) lgkmcnt(0)
	v_cmp_ngt_f64_e64 s[50:51], |v[5:6]|, |v[7:8]|
	s_and_saveexec_b64 s[56:57], s[50:51]
	s_xor_b64 s[50:51], exec, s[56:57]
	s_cbranch_execz .LBB15_96
; %bb.95:                               ;   in Loop: Header=BB15_92 Depth=2
	v_div_scale_f64 v[9:10], s[56:57], v[7:8], v[7:8], v[5:6]
	v_rcp_f64_e32 v[11:12], v[9:10]
	v_fma_f64 v[19:20], -v[9:10], v[11:12], 1.0
	v_fma_f64 v[11:12], v[11:12], v[19:20], v[11:12]
	v_div_scale_f64 v[19:20], vcc, v[5:6], v[7:8], v[5:6]
	v_fma_f64 v[21:22], -v[9:10], v[11:12], 1.0
	v_fma_f64 v[11:12], v[11:12], v[21:22], v[11:12]
	v_mul_f64 v[21:22], v[19:20], v[11:12]
	v_fma_f64 v[9:10], -v[9:10], v[21:22], v[19:20]
	v_div_fmas_f64 v[9:10], v[9:10], v[11:12], v[21:22]
	v_div_fixup_f64 v[9:10], v[9:10], v[7:8], v[5:6]
	v_fma_f64 v[5:6], v[5:6], v[9:10], v[7:8]
	v_div_scale_f64 v[7:8], s[56:57], v[5:6], v[5:6], 1.0
	v_rcp_f64_e32 v[11:12], v[7:8]
	v_fma_f64 v[19:20], -v[7:8], v[11:12], 1.0
	v_fma_f64 v[11:12], v[11:12], v[19:20], v[11:12]
	v_div_scale_f64 v[19:20], vcc, 1.0, v[5:6], 1.0
	v_fma_f64 v[21:22], -v[7:8], v[11:12], 1.0
	v_fma_f64 v[11:12], v[11:12], v[21:22], v[11:12]
	v_mul_f64 v[21:22], v[19:20], v[11:12]
	v_fma_f64 v[7:8], -v[7:8], v[21:22], v[19:20]
	v_div_fmas_f64 v[7:8], v[7:8], v[11:12], v[21:22]
	v_fma_f64 v[11:12], v[9:10], v[1:2], v[3:4]
	v_fma_f64 v[1:2], v[9:10], v[3:4], -v[1:2]
	v_div_fixup_f64 v[5:6], v[7:8], v[5:6], 1.0
	v_mul_f64 v[9:10], v[11:12], v[5:6]
	v_mul_f64 v[11:12], v[5:6], v[1:2]
                                        ; implicit-def: $vgpr5_vgpr6
                                        ; implicit-def: $vgpr3_vgpr4
.LBB15_96:                              ;   in Loop: Header=BB15_92 Depth=2
	s_andn2_saveexec_b64 s[50:51], s[50:51]
	s_cbranch_execz .LBB15_98
; %bb.97:                               ;   in Loop: Header=BB15_92 Depth=2
	v_div_scale_f64 v[9:10], s[56:57], v[5:6], v[5:6], v[7:8]
	v_rcp_f64_e32 v[11:12], v[9:10]
	v_fma_f64 v[19:20], -v[9:10], v[11:12], 1.0
	v_fma_f64 v[11:12], v[11:12], v[19:20], v[11:12]
	v_div_scale_f64 v[19:20], vcc, v[7:8], v[5:6], v[7:8]
	v_fma_f64 v[21:22], -v[9:10], v[11:12], 1.0
	v_fma_f64 v[11:12], v[11:12], v[21:22], v[11:12]
	v_mul_f64 v[21:22], v[19:20], v[11:12]
	v_fma_f64 v[9:10], -v[9:10], v[21:22], v[19:20]
	v_div_fmas_f64 v[9:10], v[9:10], v[11:12], v[21:22]
	v_div_fixup_f64 v[9:10], v[9:10], v[5:6], v[7:8]
	v_fma_f64 v[5:6], v[7:8], v[9:10], v[5:6]
	v_div_scale_f64 v[7:8], s[56:57], v[5:6], v[5:6], 1.0
	v_rcp_f64_e32 v[11:12], v[7:8]
	v_fma_f64 v[19:20], -v[7:8], v[11:12], 1.0
	v_fma_f64 v[11:12], v[11:12], v[19:20], v[11:12]
	v_div_scale_f64 v[19:20], vcc, 1.0, v[5:6], 1.0
	v_fma_f64 v[21:22], -v[7:8], v[11:12], 1.0
	v_fma_f64 v[11:12], v[11:12], v[21:22], v[11:12]
	v_mul_f64 v[21:22], v[19:20], v[11:12]
	v_fma_f64 v[7:8], -v[7:8], v[21:22], v[19:20]
	v_div_fmas_f64 v[7:8], v[7:8], v[11:12], v[21:22]
	v_fma_f64 v[11:12], v[9:10], v[3:4], v[1:2]
	v_fma_f64 v[1:2], -v[9:10], v[1:2], v[3:4]
	v_div_fixup_f64 v[5:6], v[7:8], v[5:6], 1.0
	v_mul_f64 v[9:10], v[5:6], v[11:12]
	v_mul_f64 v[11:12], v[1:2], v[5:6]
.LBB15_98:                              ;   in Loop: Header=BB15_92 Depth=2
	s_or_b64 exec, exec, s[50:51]
	ds_write_b128 v15, v[9:12]
.LBB15_99:                              ;   in Loop: Header=BB15_92 Depth=2
	s_or_b64 exec, exec, s[2:3]
	v_cmp_lt_u32_e32 vcc, s53, v0
	v_cmp_ge_i32_e64 s[2:3], s54, v18
	s_and_b64 s[50:51], s[44:45], vcc
	s_and_b64 s[50:51], s[50:51], s[2:3]
	s_waitcnt lgkmcnt(0)
	s_barrier
	s_and_saveexec_b64 s[2:3], s[50:51]
	s_cbranch_execz .LBB15_101
; %bb.100:                              ;   in Loop: Header=BB15_92 Depth=2
	v_lshlrev_b64 v[1:2], 4, v[13:14]
	v_mov_b32_e32 v3, s47
	v_add_co_u32_e32 v1, vcc, s46, v1
	v_addc_co_u32_e32 v2, vcc, v3, v2, vcc
	flat_load_dwordx4 v[1:4], v[1:2]
	v_mov_b32_e32 v5, s52
	ds_read_b128 v[5:8], v5
	s_waitcnt vmcnt(0) lgkmcnt(0)
	v_mul_f64 v[9:10], v[3:4], v[7:8]
	v_mul_f64 v[7:8], v[1:2], v[7:8]
	v_fma_f64 v[9:10], v[1:2], v[5:6], -v[9:10]
	v_fma_f64 v[5:6], v[3:4], v[5:6], v[7:8]
	ds_read_b128 v[1:4], v15
	s_waitcnt lgkmcnt(0)
	v_add_f64 v[1:2], v[1:2], -v[9:10]
	v_add_f64 v[3:4], v[3:4], -v[5:6]
	ds_write_b128 v15, v[1:4]
.LBB15_101:                             ;   in Loop: Header=BB15_92 Depth=2
	s_or_b64 exec, exec, s[2:3]
	s_add_i32 s53, s53, 1
	s_add_i32 s52, s52, 16
	s_add_u32 s48, s48, s28
	s_addc_u32 s49, s49, s29
	s_add_u32 s46, s46, s28
	s_addc_u32 s47, s47, s29
	s_cmpk_eq_i32 s53, 0x200
	v_add_u32_e32 v13, -1, v13
	s_cselect_b64 s[2:3], -1, 0
	s_and_b64 vcc, exec, s[2:3]
	s_cbranch_vccz .LBB15_92
.LBB15_102:                             ;   in Loop: Header=BB15_88 Depth=1
	s_add_i32 s62, s61, 0x200
	s_cmp_ge_i32 s62, s9
	s_cselect_b64 s[2:3], -1, 0
	s_and_b64 vcc, exec, s[2:3]
	s_waitcnt lgkmcnt(0)
	s_barrier
	s_cbranch_vccnz .LBB15_122
; %bb.103:                              ;   in Loop: Header=BB15_88 Depth=1
	v_ashrrev_i32_e32 v4, 31, v16
	v_mov_b32_e32 v2, s35
	v_add_co_u32_e32 v1, vcc, s34, v16
	v_addc_co_u32_e32 v2, vcc, v2, v4, vcc
	v_mov_b32_e32 v5, s37
	v_add_co_u32_e32 v3, vcc, s36, v16
	v_addc_co_u32_e32 v4, vcc, v5, v4, vcc
	v_lshlrev_b64 v[1:2], 4, v[1:2]
	v_lshlrev_b64 v[3:4], 4, v[3:4]
	s_mov_b64 s[44:45], 0
	v_mov_b32_e32 v9, v0
	s_mov_b64 s[46:47], s[40:41]
	s_mov_b32 s63, s62
                                        ; implicit-def: $sgpr48_sgpr49
	s_branch .LBB15_106
.LBB15_104:                             ;   in Loop: Header=BB15_106 Depth=2
	v_mad_u64_u32 v[11:12], s[52:53], s6, v10, 0
	s_addk_i32 s63, 0x200
	s_add_u32 s46, s46, 0x2000
	v_mad_u64_u32 v[12:13], s[52:53], s7, v10, v[12:13]
	v_mov_b32_e32 v13, s33
	s_addc_u32 s47, s47, 0
	v_lshlrev_b64 v[10:11], 4, v[11:12]
	s_cmp_ge_i32 s63, s9
	v_add_co_u32_e32 v18, vcc, s8, v10
	v_addc_co_u32_e32 v19, vcc, v13, v11, vcc
	flat_load_dwordx4 v[10:13], v[18:19]
	s_cselect_b64 s[52:53], -1, 0
	s_andn2_b64 s[48:49], s[48:49], exec
	s_and_b64 s[52:53], s[52:53], exec
	s_or_b64 s[48:49], s[48:49], s[52:53]
	s_waitcnt vmcnt(0) lgkmcnt(0)
	v_add_f64 v[10:11], v[10:11], -v[7:8]
	v_add_f64 v[12:13], v[12:13], -v[5:6]
	flat_store_dwordx4 v[18:19], v[10:13]
.LBB15_105:                             ;   in Loop: Header=BB15_106 Depth=2
	s_or_b64 exec, exec, s[50:51]
	s_and_b64 s[50:51], exec, s[48:49]
	s_or_b64 s[44:45], s[50:51], s[44:45]
	s_andn2_b64 exec, exec, s[44:45]
	s_cbranch_execz .LBB15_121
.LBB15_106:                             ;   Parent Loop BB15_88 Depth=1
                                        ; =>  This Loop Header: Depth=2
                                        ;       Child Loop BB15_109 Depth 3
	v_add_u32_e32 v10, s63, v0
	v_cmp_gt_i32_e32 vcc, s9, v10
	s_or_b64 s[48:49], s[48:49], exec
	s_and_saveexec_b64 s[50:51], vcc
	s_cbranch_execz .LBB15_105
; %bb.107:                              ;   in Loop: Header=BB15_106 Depth=2
	v_mov_b32_e32 v5, 0
	v_mov_b32_e32 v7, 0
	v_subrev_u32_e32 v11, s10, v10
	v_add_u32_e32 v12, 0x1ff, v9
	v_add_u32_e32 v9, 0x200, v9
	v_mov_b32_e32 v6, 0
	s_mov_b32 s64, 0
	s_mov_b64 s[52:53], s[12:13]
	s_mov_b64 s[54:55], s[30:31]
	v_mov_b32_e32 v8, 0
	s_mov_b32 s65, 0
	s_branch .LBB15_109
.LBB15_108:                             ;   in Loop: Header=BB15_109 Depth=3
	s_or_b64 exec, exec, s[56:57]
	s_add_i32 s65, s65, 2
	s_add_u32 s54, s54, s11
	s_addc_u32 s55, s55, s60
	s_add_i32 s64, s64, 32
	s_add_u32 s52, s52, s11
	s_addc_u32 s53, s53, s60
	s_cmpk_eq_i32 s65, 0x200
	s_cbranch_scc1 .LBB15_104
.LBB15_109:                             ;   Parent Loop BB15_88 Depth=1
                                        ;     Parent Loop BB15_106 Depth=2
                                        ; =>    This Inner Loop Header: Depth=3
	v_cmp_ne_u32_e32 vcc, s65, v9
	s_add_i32 s66, s61, s65
	s_or_b64 s[56:57], s[38:39], vcc
	s_and_saveexec_b64 s[58:59], s[56:57]
	s_xor_b64 s[56:57], exec, s[58:59]
	s_cbranch_execz .LBB15_113
; %bb.110:                              ;   in Loop: Header=BB15_109 Depth=3
	s_cmp_lt_i32 s66, s9
	s_cselect_b64 s[58:59], -1, 0
	v_cmp_ge_i32_e32 vcc, s66, v11
	s_and_b64 s[68:69], s[58:59], vcc
	s_and_saveexec_b64 s[58:59], s[68:69]
	s_cbranch_execz .LBB15_112
; %bb.111:                              ;   in Loop: Header=BB15_109 Depth=3
	s_add_u32 s67, s52, s20
	s_addc_u32 s68, s53, s21
	v_mov_b32_e32 v13, s68
	v_add_co_u32_e32 v18, vcc, s67, v3
	v_addc_co_u32_e32 v13, vcc, v13, v4, vcc
	v_mov_b32_e32 v19, s47
	v_add_co_u32_e32 v18, vcc, s46, v18
	v_addc_co_u32_e32 v19, vcc, v13, v19, vcc
	flat_load_dwordx4 v[18:21], v[18:19]
	v_mov_b32_e32 v13, s64
	ds_read_b128 v[22:25], v13
	s_waitcnt vmcnt(0) lgkmcnt(0)
	v_mul_f64 v[26:27], v[20:21], v[24:25]
	v_mul_f64 v[24:25], v[18:19], v[24:25]
	v_fma_f64 v[18:19], v[18:19], v[22:23], -v[26:27]
	v_fma_f64 v[20:21], v[20:21], v[22:23], v[24:25]
	v_add_f64 v[7:8], v[7:8], v[18:19]
	v_add_f64 v[5:6], v[5:6], v[20:21]
.LBB15_112:                             ;   in Loop: Header=BB15_109 Depth=3
	s_or_b64 exec, exec, s[58:59]
.LBB15_113:                             ;   in Loop: Header=BB15_109 Depth=3
	s_andn2_saveexec_b64 s[56:57], s[56:57]
	s_cbranch_execz .LBB15_115
; %bb.114:                              ;   in Loop: Header=BB15_109 Depth=3
	v_mov_b32_e32 v13, s64
	ds_read_b128 v[18:21], v13
	s_waitcnt lgkmcnt(0)
	v_add_f64 v[7:8], v[7:8], v[18:19]
	v_add_f64 v[5:6], v[5:6], v[20:21]
.LBB15_115:                             ;   in Loop: Header=BB15_109 Depth=3
	s_or_b64 exec, exec, s[56:57]
	v_cmp_ne_u32_e32 vcc, s65, v12
	s_or_b64 s[56:57], s[38:39], vcc
	s_and_saveexec_b64 s[58:59], s[56:57]
	s_xor_b64 s[56:57], exec, s[58:59]
	s_cbranch_execz .LBB15_119
; %bb.116:                              ;   in Loop: Header=BB15_109 Depth=3
	s_add_i32 s66, s66, 1
	s_cmp_lt_i32 s66, s9
	s_cselect_b64 s[58:59], -1, 0
	v_cmp_ge_i32_e32 vcc, s66, v11
	s_and_b64 s[66:67], s[58:59], vcc
	s_and_saveexec_b64 s[58:59], s[66:67]
	s_cbranch_execz .LBB15_118
; %bb.117:                              ;   in Loop: Header=BB15_109 Depth=3
	s_add_u32 s66, s54, s20
	s_addc_u32 s67, s55, s21
	v_mov_b32_e32 v13, s67
	v_add_co_u32_e32 v18, vcc, s66, v1
	v_addc_co_u32_e32 v13, vcc, v13, v2, vcc
	v_mov_b32_e32 v19, s47
	v_add_co_u32_e32 v18, vcc, s46, v18
	v_addc_co_u32_e32 v19, vcc, v13, v19, vcc
	flat_load_dwordx4 v[18:21], v[18:19]
	v_mov_b32_e32 v13, s64
	ds_read_b128 v[22:25], v13 offset:16
	s_waitcnt vmcnt(0) lgkmcnt(0)
	v_mul_f64 v[26:27], v[20:21], v[24:25]
	v_mul_f64 v[24:25], v[18:19], v[24:25]
	v_fma_f64 v[18:19], v[18:19], v[22:23], -v[26:27]
	v_fma_f64 v[20:21], v[20:21], v[22:23], v[24:25]
	v_add_f64 v[7:8], v[7:8], v[18:19]
	v_add_f64 v[5:6], v[5:6], v[20:21]
.LBB15_118:                             ;   in Loop: Header=BB15_109 Depth=3
	s_or_b64 exec, exec, s[58:59]
.LBB15_119:                             ;   in Loop: Header=BB15_109 Depth=3
	s_andn2_saveexec_b64 s[56:57], s[56:57]
	s_cbranch_execz .LBB15_108
; %bb.120:                              ;   in Loop: Header=BB15_109 Depth=3
	v_mov_b32_e32 v13, s64
	ds_read_b128 v[18:21], v13 offset:16
	s_waitcnt lgkmcnt(0)
	v_add_f64 v[7:8], v[7:8], v[18:19]
	v_add_f64 v[5:6], v[5:6], v[20:21]
	s_branch .LBB15_108
.LBB15_121:                             ;   in Loop: Header=BB15_88 Depth=1
	s_or_b64 exec, exec, s[44:45]
.LBB15_122:                             ;   in Loop: Header=BB15_88 Depth=1
	s_and_saveexec_b64 s[44:45], s[0:1]
	s_cbranch_execz .LBB15_87
; %bb.123:                              ;   in Loop: Header=BB15_88 Depth=1
	v_mad_u64_u32 v[5:6], s[0:1], s6, v17, 0
	v_mov_b32_e32 v1, v6
	v_mad_u64_u32 v[6:7], s[0:1], s7, v17, v[1:2]
	ds_read2_b64 v[1:4], v15 offset1:1
	v_mov_b32_e32 v7, s33
	v_lshlrev_b64 v[5:6], 4, v[5:6]
	v_add_co_u32_e32 v5, vcc, s8, v5
	v_addc_co_u32_e32 v6, vcc, v7, v6, vcc
	s_waitcnt lgkmcnt(0)
	flat_store_dwordx4 v[5:6], v[1:4]
	s_branch .LBB15_87
.LBB15_124:
	s_mov_b64 s[0:1], 0
.LBB15_125:
	s_andn2_b64 vcc, exec, s[0:1]
	s_cbranch_vccnz .LBB15_165
; %bb.126:
	s_andn2_b64 vcc, exec, s[22:23]
	s_cbranch_vccnz .LBB15_165
; %bb.127:
	s_ashr_i32 s11, s10, 31
	s_add_i32 s28, s9, 0xfffffe00
	s_add_i32 s22, s9, -1
	s_lshl_b64 s[0:1], s[10:11], 4
	s_add_u32 s2, s20, s0
	s_addc_u32 s3, s21, s1
	s_ashr_i32 s23, s22, 31
	s_lshl_b64 s[0:1], s[22:23], 4
	s_sub_u32 s0, s2, s0
	s_subb_u32 s1, s3, s1
	s_add_u32 s20, s12, s0
	s_addc_u32 s21, s13, s1
	s_lshl_b64 s[24:25], s[16:17], 4
	s_add_u32 s23, s24, 16
	s_addc_u32 s44, s25, 0
	s_sub_i32 s0, s10, s9
	s_add_i32 s45, s0, 0x1ff
	s_add_u32 s0, s14, s10
	s_addc_u32 s1, s15, s11
	s_ashr_i32 s3, s9, 31
	s_mov_b32 s2, s9
	s_lshl_b64 s[0:1], s[0:1], 4
	s_lshl_b64 s[2:3], s[2:3], 4
	s_sub_u32 s0, s0, s2
	s_subb_u32 s1, s1, s3
	s_add_u32 s2, s12, s0
	s_addc_u32 s3, s13, s1
	s_add_u32 s11, s2, 0x2008
	s_addc_u32 s46, s3, 0
	s_lshl_b64 s[0:1], s[16:17], 5
	s_add_u32 s47, s0, 0xffffffe0
	v_mov_b32_e32 v1, 0x4000
	s_addc_u32 s48, s1, -1
	v_lshl_or_b32 v18, v0, 4, v1
	v_add_u32_e32 v1, s9, v0
	s_add_u32 s49, s2, 0x2000
	v_add_u32_e32 v13, 0xfffffe00, v1
	v_add_u32_e32 v19, 0xfffffc00, v1
	s_addc_u32 s50, s3, 0
	v_mov_b32_e32 v15, 0
	s_xor_b64 s[12:13], s[18:19], -1
	s_branch .LBB15_129
.LBB15_128:                             ;   in Loop: Header=BB15_129 Depth=1
	s_or_b64 exec, exec, s[14:15]
	s_addk_i32 s22, 0xfe00
	s_add_u32 s20, s20, 0x2000
	s_addc_u32 s21, s21, 0
	s_addk_i32 s9, 0xfe00
	s_addk_i32 s45, 0x200
	s_add_u32 s11, s11, 0x2000
	s_addc_u32 s46, s46, 0
	s_add_u32 s49, s49, 0x2000
	v_add_u32_e32 v13, 0xfffffe00, v13
	v_add_u32_e32 v19, 0xfffffe00, v19
	s_addc_u32 s50, s50, 0
	s_and_b64 vcc, exec, s[2:3]
	s_mov_b32 s28, s51
	s_waitcnt vmcnt(0) lgkmcnt(0)
	s_barrier
	s_cbranch_vccnz .LBB15_165
.LBB15_129:                             ; =>This Loop Header: Depth=1
                                        ;     Child Loop BB15_133 Depth 2
                                        ;     Child Loop BB15_147 Depth 2
                                        ;       Child Loop BB15_150 Depth 3
	v_add_u32_e32 v20, s28, v0
	v_cmp_gt_i32_e32 vcc, 0, v20
	v_cmp_lt_i32_e64 s[0:1], -1, v20
	s_and_saveexec_b64 s[14:15], s[0:1]
	s_cbranch_execz .LBB15_131
; %bb.130:                              ;   in Loop: Header=BB15_129 Depth=1
	v_mad_u64_u32 v[1:2], s[2:3], s6, v20, 0
	v_mad_u64_u32 v[2:3], s[2:3], s7, v20, v[2:3]
	v_mov_b32_e32 v3, s33
	v_lshlrev_b64 v[1:2], 4, v[1:2]
	v_add_co_u32_e64 v1, s[2:3], s8, v1
	v_addc_co_u32_e64 v2, s[2:3], v3, v2, s[2:3]
	flat_load_dwordx4 v[1:4], v[1:2]
	s_waitcnt vmcnt(0) lgkmcnt(0)
	ds_write2_b64 v18, v[1:2], v[3:4] offset1:1
.LBB15_131:                             ;   in Loop: Header=BB15_129 Depth=1
	s_or_b64 exec, exec, s[14:15]
	v_mov_b32_e32 v14, v15
	v_lshlrev_b64 v[1:2], 4, v[13:14]
	v_mov_b32_e32 v3, s21
	v_add_co_u32_e64 v16, s[2:3], s20, v1
	v_addc_co_u32_e64 v17, s[2:3], v3, v2, s[2:3]
	v_add_u32_e32 v14, s10, v20
	s_movk_i32 s29, 0x1ff
	s_movk_i32 s30, 0x5ff0
	s_xor_b64 s[14:15], vcc, -1
	s_mov_b32 s31, s22
	s_mov_b64 s[18:19], s[20:21]
	s_waitcnt lgkmcnt(0)
	s_barrier
	s_branch .LBB15_133
.LBB15_132:                             ;   in Loop: Header=BB15_133 Depth=2
                                        ; implicit-def: $sgpr29
                                        ; implicit-def: $sgpr30
                                        ; implicit-def: $sgpr18_sgpr19
                                        ; implicit-def: $sgpr31
                                        ; implicit-def: $vgpr16_vgpr17
	s_cbranch_execnz .LBB15_143
.LBB15_133:                             ;   Parent Loop BB15_129 Depth=1
                                        ; =>  This Inner Loop Header: Depth=2
	s_add_i32 s34, s22, s29
	s_addk_i32 s34, 0xfe01
	s_cmp_lt_i32 s34, 0
	s_cbranch_scc1 .LBB15_132
; %bb.134:                              ;   in Loop: Header=BB15_133 Depth=2
	v_cmp_eq_u32_e32 vcc, s29, v0
	s_and_b64 s[26:27], s[12:13], vcc
	s_and_saveexec_b64 s[2:3], s[26:27]
	s_cbranch_execz .LBB15_140
; %bb.135:                              ;   in Loop: Header=BB15_133 Depth=2
	s_mul_i32 s26, s44, s31
	s_mul_hi_u32 s27, s23, s31
	s_add_i32 s27, s27, s26
	s_mul_i32 s26, s23, s31
	s_add_u32 s26, s18, s26
	s_addc_u32 s27, s19, s27
	v_mov_b32_e32 v1, s26
	v_mov_b32_e32 v2, s27
	flat_load_dwordx4 v[5:8], v[1:2]
	ds_read_b128 v[1:4], v18
                                        ; implicit-def: $vgpr9_vgpr10
	s_waitcnt vmcnt(0) lgkmcnt(0)
	v_cmp_ngt_f64_e64 s[26:27], |v[5:6]|, |v[7:8]|
	s_and_saveexec_b64 s[36:37], s[26:27]
	s_xor_b64 s[26:27], exec, s[36:37]
	s_cbranch_execz .LBB15_137
; %bb.136:                              ;   in Loop: Header=BB15_133 Depth=2
	v_div_scale_f64 v[9:10], s[36:37], v[7:8], v[7:8], v[5:6]
	v_rcp_f64_e32 v[11:12], v[9:10]
	v_fma_f64 v[21:22], -v[9:10], v[11:12], 1.0
	v_fma_f64 v[11:12], v[11:12], v[21:22], v[11:12]
	v_div_scale_f64 v[21:22], vcc, v[5:6], v[7:8], v[5:6]
	v_fma_f64 v[23:24], -v[9:10], v[11:12], 1.0
	v_fma_f64 v[11:12], v[11:12], v[23:24], v[11:12]
	v_mul_f64 v[23:24], v[21:22], v[11:12]
	v_fma_f64 v[9:10], -v[9:10], v[23:24], v[21:22]
	v_div_fmas_f64 v[9:10], v[9:10], v[11:12], v[23:24]
	v_div_fixup_f64 v[9:10], v[9:10], v[7:8], v[5:6]
	v_fma_f64 v[5:6], v[5:6], v[9:10], v[7:8]
	v_div_scale_f64 v[7:8], s[36:37], v[5:6], v[5:6], 1.0
	v_rcp_f64_e32 v[11:12], v[7:8]
	v_fma_f64 v[21:22], -v[7:8], v[11:12], 1.0
	v_fma_f64 v[11:12], v[11:12], v[21:22], v[11:12]
	v_div_scale_f64 v[21:22], vcc, 1.0, v[5:6], 1.0
	v_fma_f64 v[23:24], -v[7:8], v[11:12], 1.0
	v_fma_f64 v[11:12], v[11:12], v[23:24], v[11:12]
	v_mul_f64 v[23:24], v[21:22], v[11:12]
	v_fma_f64 v[7:8], -v[7:8], v[23:24], v[21:22]
	v_div_fmas_f64 v[7:8], v[7:8], v[11:12], v[23:24]
	v_fma_f64 v[11:12], v[9:10], v[1:2], v[3:4]
	v_fma_f64 v[1:2], v[9:10], v[3:4], -v[1:2]
	v_div_fixup_f64 v[5:6], v[7:8], v[5:6], 1.0
	v_mul_f64 v[9:10], v[11:12], v[5:6]
	v_mul_f64 v[11:12], v[5:6], v[1:2]
                                        ; implicit-def: $vgpr5_vgpr6
                                        ; implicit-def: $vgpr3_vgpr4
.LBB15_137:                             ;   in Loop: Header=BB15_133 Depth=2
	s_andn2_saveexec_b64 s[26:27], s[26:27]
	s_cbranch_execz .LBB15_139
; %bb.138:                              ;   in Loop: Header=BB15_133 Depth=2
	v_div_scale_f64 v[9:10], s[36:37], v[5:6], v[5:6], v[7:8]
	v_rcp_f64_e32 v[11:12], v[9:10]
	v_fma_f64 v[21:22], -v[9:10], v[11:12], 1.0
	v_fma_f64 v[11:12], v[11:12], v[21:22], v[11:12]
	v_div_scale_f64 v[21:22], vcc, v[7:8], v[5:6], v[7:8]
	v_fma_f64 v[23:24], -v[9:10], v[11:12], 1.0
	v_fma_f64 v[11:12], v[11:12], v[23:24], v[11:12]
	v_mul_f64 v[23:24], v[21:22], v[11:12]
	v_fma_f64 v[9:10], -v[9:10], v[23:24], v[21:22]
	v_div_fmas_f64 v[9:10], v[9:10], v[11:12], v[23:24]
	v_div_fixup_f64 v[9:10], v[9:10], v[5:6], v[7:8]
	v_fma_f64 v[5:6], v[7:8], v[9:10], v[5:6]
	v_div_scale_f64 v[7:8], s[36:37], v[5:6], v[5:6], 1.0
	v_rcp_f64_e32 v[11:12], v[7:8]
	v_fma_f64 v[21:22], -v[7:8], v[11:12], 1.0
	v_fma_f64 v[11:12], v[11:12], v[21:22], v[11:12]
	v_div_scale_f64 v[21:22], vcc, 1.0, v[5:6], 1.0
	v_fma_f64 v[23:24], -v[7:8], v[11:12], 1.0
	v_fma_f64 v[11:12], v[11:12], v[23:24], v[11:12]
	v_mul_f64 v[23:24], v[21:22], v[11:12]
	v_fma_f64 v[7:8], -v[7:8], v[23:24], v[21:22]
	v_div_fmas_f64 v[7:8], v[7:8], v[11:12], v[23:24]
	v_fma_f64 v[11:12], v[9:10], v[3:4], v[1:2]
	v_fma_f64 v[1:2], -v[9:10], v[1:2], v[3:4]
	v_div_fixup_f64 v[5:6], v[7:8], v[5:6], 1.0
	v_mul_f64 v[9:10], v[5:6], v[11:12]
	v_mul_f64 v[11:12], v[1:2], v[5:6]
.LBB15_139:                             ;   in Loop: Header=BB15_133 Depth=2
	s_or_b64 exec, exec, s[26:27]
	ds_write_b128 v18, v[9:12]
.LBB15_140:                             ;   in Loop: Header=BB15_133 Depth=2
	s_or_b64 exec, exec, s[2:3]
	v_cmp_gt_u32_e32 vcc, s29, v0
	v_cmp_le_i32_e64 s[2:3], s34, v14
	s_and_b64 s[26:27], s[14:15], vcc
	s_and_b64 s[26:27], s[26:27], s[2:3]
	s_waitcnt lgkmcnt(0)
	s_barrier
	s_and_saveexec_b64 s[2:3], s[26:27]
	s_cbranch_execz .LBB15_142
; %bb.141:                              ;   in Loop: Header=BB15_133 Depth=2
	v_mov_b32_e32 v1, s31
	v_mad_u64_u32 v[1:2], s[26:27], s24, v1, v[16:17]
	s_mul_i32 s26, s25, s31
	v_mov_b32_e32 v5, s30
	v_add_u32_e32 v2, s26, v2
	flat_load_dwordx4 v[1:4], v[1:2]
	ds_read_b128 v[5:8], v5
	s_waitcnt vmcnt(0) lgkmcnt(0)
	v_mul_f64 v[9:10], v[3:4], v[7:8]
	v_mul_f64 v[7:8], v[1:2], v[7:8]
	v_fma_f64 v[9:10], v[1:2], v[5:6], -v[9:10]
	v_fma_f64 v[5:6], v[3:4], v[5:6], v[7:8]
	ds_read_b128 v[1:4], v18
	s_waitcnt lgkmcnt(0)
	v_add_f64 v[1:2], v[1:2], -v[9:10]
	v_add_f64 v[3:4], v[3:4], -v[5:6]
	ds_write_b128 v18, v[1:4]
.LBB15_142:                             ;   in Loop: Header=BB15_133 Depth=2
	s_or_b64 exec, exec, s[2:3]
	s_add_i32 s29, s29, -1
	s_add_i32 s30, s30, -16
	s_add_u32 s18, s18, 16
	s_addc_u32 s19, s19, 0
	s_add_i32 s31, s31, -1
	v_add_co_u32_e32 v16, vcc, 16, v16
	s_cmp_eq_u32 s29, -1
	v_addc_co_u32_e32 v17, vcc, 0, v17, vcc
	s_cselect_b64 s[2:3], -1, 0
	s_and_b64 vcc, exec, s[2:3]
	s_cbranch_vccz .LBB15_133
.LBB15_143:                             ;   in Loop: Header=BB15_129 Depth=1
	s_add_i32 s51, s28, 0xfffffe00
	s_cmp_lt_i32 s28, 1
	s_cselect_b64 s[2:3], -1, 0
	s_and_b64 vcc, exec, s[2:3]
	s_waitcnt lgkmcnt(0)
	s_barrier
	s_cbranch_vccnz .LBB15_163
; %bb.144:                              ;   in Loop: Header=BB15_129 Depth=1
	s_mul_i32 s14, s25, s28
	s_mul_hi_u32 s15, s24, s28
	s_add_i32 s19, s15, s14
	s_mul_i32 s18, s24, s28
	s_add_u32 s14, s11, s18
	s_addc_u32 s15, s46, s19
	s_add_u32 s18, s49, s18
	s_addc_u32 s19, s50, s19
	s_mov_b64 s[26:27], 0
	v_mov_b32_e32 v1, v19
	v_mov_b32_e32 v8, v0
	s_mov_b32 s52, s51
                                        ; implicit-def: $sgpr28_sgpr29
	s_branch .LBB15_147
.LBB15_145:                             ;   in Loop: Header=BB15_147 Depth=2
	v_mad_u64_u32 v[6:7], s[34:35], s6, v14, 0
	s_add_i32 s36, s52, 0xfffffe00
	s_cmp_lt_i32 s52, 1
	v_mad_u64_u32 v[9:10], s[34:35], s7, v14, v[7:8]
	v_mov_b32_e32 v10, s33
	s_cselect_b64 s[34:35], -1, 0
	v_mov_b32_e32 v7, v9
	v_lshlrev_b64 v[6:7], 4, v[6:7]
	s_andn2_b64 s[28:29], s[28:29], exec
	v_add_co_u32_e32 v16, vcc, s8, v6
	v_addc_co_u32_e32 v17, vcc, v10, v7, vcc
	flat_load_dwordx4 v[9:12], v[16:17]
	s_and_b64 s[34:35], s[34:35], exec
	v_add_u32_e32 v1, 0xfffffe00, v1
	s_or_b64 s[28:29], s[28:29], s[34:35]
	s_mov_b32 s52, s36
	s_waitcnt vmcnt(0) lgkmcnt(0)
	v_add_f64 v[4:5], v[9:10], -v[4:5]
	v_add_f64 v[6:7], v[11:12], -v[2:3]
	flat_store_dwordx4 v[16:17], v[4:7]
.LBB15_146:                             ;   in Loop: Header=BB15_147 Depth=2
	s_or_b64 exec, exec, s[30:31]
	s_and_b64 s[30:31], exec, s[28:29]
	s_or_b64 s[26:27], s[30:31], s[26:27]
	s_andn2_b64 exec, exec, s[26:27]
	s_cbranch_execz .LBB15_162
.LBB15_147:                             ;   Parent Loop BB15_129 Depth=1
                                        ; =>  This Loop Header: Depth=2
                                        ;       Child Loop BB15_150 Depth 3
	v_add_u32_e32 v14, s52, v0
	v_cmp_lt_i32_e32 vcc, -1, v14
	s_or_b64 s[28:29], s[28:29], exec
	s_and_saveexec_b64 s[30:31], vcc
	s_cbranch_execz .LBB15_146
; %bb.148:                              ;   in Loop: Header=BB15_147 Depth=2
	v_mov_b32_e32 v2, v15
	v_lshlrev_b64 v[6:7], 4, v[1:2]
	v_lshlrev_b64 v[2:3], 4, v[14:15]
	v_mov_b32_e32 v4, s5
	v_add_co_u32_e32 v9, vcc, s4, v2
	v_addc_co_u32_e32 v10, vcc, v4, v3, vcc
	v_mov_b32_e32 v2, 0
	v_mov_b32_e32 v4, 0
	v_add_u32_e32 v11, s10, v14
	v_add_u32_e32 v12, 0xfffffdff, v8
	;; [unrolled: 1-line block ×3, first 2 shown]
	v_mov_b32_e32 v3, 0
	s_mov_b32 s53, 0
	s_movk_i32 s54, 0x4000
	s_mov_b64 s[34:35], s[18:19]
	s_mov_b64 s[36:37], s[14:15]
	v_mov_b32_e32 v5, 0
	s_mov_b32 s38, s45
	s_branch .LBB15_150
.LBB15_149:                             ;   in Loop: Header=BB15_150 Depth=3
	s_or_b64 exec, exec, s[40:41]
	s_add_i32 s53, s53, 2
	s_add_i32 s54, s54, 32
	s_add_i32 s38, s38, -2
	s_add_u32 s36, s36, s47
	s_addc_u32 s37, s37, s48
	s_add_u32 s34, s34, s47
	s_addc_u32 s35, s35, s48
	s_cmpk_eq_i32 s53, 0x200
	s_cbranch_scc1 .LBB15_145
.LBB15_150:                             ;   Parent Loop BB15_129 Depth=1
                                        ;     Parent Loop BB15_147 Depth=2
                                        ; =>    This Inner Loop Header: Depth=3
	v_cmp_ne_u32_e32 vcc, s53, v8
	s_add_i32 s39, s9, s53
	s_or_b64 s[40:41], s[12:13], vcc
	s_and_saveexec_b64 s[42:43], s[40:41]
	s_xor_b64 s[40:41], exec, s[42:43]
	s_cbranch_execz .LBB15_154
; %bb.151:                              ;   in Loop: Header=BB15_150 Depth=3
	s_add_i32 s42, s39, 0xfffffe00
	v_cmp_le_i32_e32 vcc, s42, v11
	s_and_saveexec_b64 s[42:43], vcc
	s_cbranch_execz .LBB15_153
; %bb.152:                              ;   in Loop: Header=BB15_150 Depth=3
	v_mov_b32_e32 v17, s35
	v_add_co_u32_e32 v16, vcc, s34, v6
	v_addc_co_u32_e32 v17, vcc, v17, v7, vcc
	v_mov_b32_e32 v22, s37
	v_add_co_u32_e32 v21, vcc, s36, v6
	v_addc_co_u32_e32 v22, vcc, v22, v7, vcc
	flat_load_dwordx2 v[25:26], v[21:22]
	s_nop 0
	flat_load_dwordx2 v[16:17], v[16:17]
	v_mov_b32_e32 v21, s54
	ds_read_b128 v[21:24], v21
	s_waitcnt vmcnt(0) lgkmcnt(0)
	v_mul_f64 v[27:28], v[25:26], v[23:24]
	v_mul_f64 v[23:24], v[16:17], v[23:24]
	v_fma_f64 v[16:17], v[16:17], v[21:22], -v[27:28]
	v_fma_f64 v[21:22], v[25:26], v[21:22], v[23:24]
	v_add_f64 v[4:5], v[4:5], v[16:17]
	v_add_f64 v[2:3], v[2:3], v[21:22]
.LBB15_153:                             ;   in Loop: Header=BB15_150 Depth=3
	s_or_b64 exec, exec, s[42:43]
.LBB15_154:                             ;   in Loop: Header=BB15_150 Depth=3
	s_andn2_saveexec_b64 s[40:41], s[40:41]
	s_cbranch_execz .LBB15_156
; %bb.155:                              ;   in Loop: Header=BB15_150 Depth=3
	v_mov_b32_e32 v16, s54
	ds_read_b128 v[21:24], v16
	s_waitcnt lgkmcnt(0)
	v_add_f64 v[4:5], v[4:5], v[21:22]
	v_add_f64 v[2:3], v[2:3], v[23:24]
.LBB15_156:                             ;   in Loop: Header=BB15_150 Depth=3
	s_or_b64 exec, exec, s[40:41]
	v_cmp_ne_u32_e32 vcc, s53, v12
	s_or_b64 s[40:41], s[12:13], vcc
	s_and_saveexec_b64 s[42:43], s[40:41]
	s_xor_b64 s[40:41], exec, s[42:43]
	s_cbranch_execz .LBB15_160
; %bb.157:                              ;   in Loop: Header=BB15_150 Depth=3
	s_addk_i32 s39, 0xfe01
	v_cmp_le_i32_e32 vcc, s39, v11
	s_and_saveexec_b64 s[42:43], vcc
	s_cbranch_execz .LBB15_159
; %bb.158:                              ;   in Loop: Header=BB15_150 Depth=3
	s_mul_i32 s55, s17, s39
	s_mul_hi_u32 s56, s16, s39
	s_add_i32 s57, s56, s55
	s_mul_i32 s56, s16, s39
	s_lshl_b64 s[56:57], s[56:57], 4
	s_ashr_i32 s39, s38, 31
	v_mov_b32_e32 v16, s57
	v_add_co_u32_e32 v17, vcc, s56, v9
	v_addc_co_u32_e32 v21, vcc, v10, v16, vcc
	s_lshl_b64 s[56:57], s[38:39], 4
	v_mov_b32_e32 v22, s57
	v_add_co_u32_e32 v16, vcc, s56, v17
	v_addc_co_u32_e32 v17, vcc, v21, v22, vcc
	flat_load_dwordx4 v[21:24], v[16:17]
	v_mov_b32_e32 v16, s54
	ds_read_b128 v[25:28], v16 offset:16
	s_waitcnt vmcnt(0) lgkmcnt(0)
	v_mul_f64 v[16:17], v[23:24], v[27:28]
	v_mul_f64 v[27:28], v[21:22], v[27:28]
	v_fma_f64 v[16:17], v[21:22], v[25:26], -v[16:17]
	v_fma_f64 v[21:22], v[23:24], v[25:26], v[27:28]
	v_add_f64 v[4:5], v[4:5], v[16:17]
	v_add_f64 v[2:3], v[2:3], v[21:22]
.LBB15_159:                             ;   in Loop: Header=BB15_150 Depth=3
	s_or_b64 exec, exec, s[42:43]
.LBB15_160:                             ;   in Loop: Header=BB15_150 Depth=3
	s_andn2_saveexec_b64 s[40:41], s[40:41]
	s_cbranch_execz .LBB15_149
; %bb.161:                              ;   in Loop: Header=BB15_150 Depth=3
	v_mov_b32_e32 v16, s54
	ds_read_b128 v[21:24], v16 offset:16
	s_waitcnt lgkmcnt(0)
	v_add_f64 v[4:5], v[4:5], v[21:22]
	v_add_f64 v[2:3], v[2:3], v[23:24]
	s_branch .LBB15_149
.LBB15_162:                             ;   in Loop: Header=BB15_129 Depth=1
	s_or_b64 exec, exec, s[26:27]
.LBB15_163:                             ;   in Loop: Header=BB15_129 Depth=1
	s_and_saveexec_b64 s[14:15], s[0:1]
	s_cbranch_execz .LBB15_128
; %bb.164:                              ;   in Loop: Header=BB15_129 Depth=1
	v_mad_u64_u32 v[5:6], s[0:1], s6, v20, 0
	v_mov_b32_e32 v1, v6
	v_mad_u64_u32 v[6:7], s[0:1], s7, v20, v[1:2]
	ds_read2_b64 v[1:4], v18 offset1:1
	v_mov_b32_e32 v7, s33
	v_lshlrev_b64 v[5:6], 4, v[5:6]
	v_add_co_u32_e32 v5, vcc, s8, v5
	v_addc_co_u32_e32 v6, vcc, v7, v6, vcc
	s_waitcnt lgkmcnt(0)
	flat_store_dwordx4 v[5:6], v[1:4]
	s_branch .LBB15_128
.LBB15_165:
	s_endpgm
	.section	.rodata,"a",@progbits
	.p2align	6, 0x0
	.amdhsa_kernel _ZL19rocblas_tbsv_kernelILb0ELi512EPKPK19rocblas_complex_numIdEPKPS1_Ev18rocblas_operation_bbiiT1_lllT2_lll
		.amdhsa_group_segment_fixed_size 32768
		.amdhsa_private_segment_fixed_size 0
		.amdhsa_kernarg_size 80
		.amdhsa_user_sgpr_count 6
		.amdhsa_user_sgpr_private_segment_buffer 1
		.amdhsa_user_sgpr_dispatch_ptr 0
		.amdhsa_user_sgpr_queue_ptr 0
		.amdhsa_user_sgpr_kernarg_segment_ptr 1
		.amdhsa_user_sgpr_dispatch_id 0
		.amdhsa_user_sgpr_flat_scratch_init 0
		.amdhsa_user_sgpr_private_segment_size 0
		.amdhsa_uses_dynamic_stack 0
		.amdhsa_system_sgpr_private_segment_wavefront_offset 0
		.amdhsa_system_sgpr_workgroup_id_x 1
		.amdhsa_system_sgpr_workgroup_id_y 0
		.amdhsa_system_sgpr_workgroup_id_z 0
		.amdhsa_system_sgpr_workgroup_info 0
		.amdhsa_system_vgpr_workitem_id 0
		.amdhsa_next_free_vgpr 49
		.amdhsa_next_free_sgpr 98
		.amdhsa_reserve_vcc 1
		.amdhsa_reserve_flat_scratch 0
		.amdhsa_float_round_mode_32 0
		.amdhsa_float_round_mode_16_64 0
		.amdhsa_float_denorm_mode_32 3
		.amdhsa_float_denorm_mode_16_64 3
		.amdhsa_dx10_clamp 1
		.amdhsa_ieee_mode 1
		.amdhsa_fp16_overflow 0
		.amdhsa_exception_fp_ieee_invalid_op 0
		.amdhsa_exception_fp_denorm_src 0
		.amdhsa_exception_fp_ieee_div_zero 0
		.amdhsa_exception_fp_ieee_overflow 0
		.amdhsa_exception_fp_ieee_underflow 0
		.amdhsa_exception_fp_ieee_inexact 0
		.amdhsa_exception_int_div_zero 0
	.end_amdhsa_kernel
	.section	.text._ZL19rocblas_tbsv_kernelILb0ELi512EPKPK19rocblas_complex_numIdEPKPS1_Ev18rocblas_operation_bbiiT1_lllT2_lll,"axG",@progbits,_ZL19rocblas_tbsv_kernelILb0ELi512EPKPK19rocblas_complex_numIdEPKPS1_Ev18rocblas_operation_bbiiT1_lllT2_lll,comdat
.Lfunc_end15:
	.size	_ZL19rocblas_tbsv_kernelILb0ELi512EPKPK19rocblas_complex_numIdEPKPS1_Ev18rocblas_operation_bbiiT1_lllT2_lll, .Lfunc_end15-_ZL19rocblas_tbsv_kernelILb0ELi512EPKPK19rocblas_complex_numIdEPKPS1_Ev18rocblas_operation_bbiiT1_lllT2_lll
                                        ; -- End function
	.set _ZL19rocblas_tbsv_kernelILb0ELi512EPKPK19rocblas_complex_numIdEPKPS1_Ev18rocblas_operation_bbiiT1_lllT2_lll.num_vgpr, 30
	.set _ZL19rocblas_tbsv_kernelILb0ELi512EPKPK19rocblas_complex_numIdEPKPS1_Ev18rocblas_operation_bbiiT1_lllT2_lll.num_agpr, 0
	.set _ZL19rocblas_tbsv_kernelILb0ELi512EPKPK19rocblas_complex_numIdEPKPS1_Ev18rocblas_operation_bbiiT1_lllT2_lll.numbered_sgpr, 70
	.set _ZL19rocblas_tbsv_kernelILb0ELi512EPKPK19rocblas_complex_numIdEPKPS1_Ev18rocblas_operation_bbiiT1_lllT2_lll.num_named_barrier, 0
	.set _ZL19rocblas_tbsv_kernelILb0ELi512EPKPK19rocblas_complex_numIdEPKPS1_Ev18rocblas_operation_bbiiT1_lllT2_lll.private_seg_size, 0
	.set _ZL19rocblas_tbsv_kernelILb0ELi512EPKPK19rocblas_complex_numIdEPKPS1_Ev18rocblas_operation_bbiiT1_lllT2_lll.uses_vcc, 1
	.set _ZL19rocblas_tbsv_kernelILb0ELi512EPKPK19rocblas_complex_numIdEPKPS1_Ev18rocblas_operation_bbiiT1_lllT2_lll.uses_flat_scratch, 0
	.set _ZL19rocblas_tbsv_kernelILb0ELi512EPKPK19rocblas_complex_numIdEPKPS1_Ev18rocblas_operation_bbiiT1_lllT2_lll.has_dyn_sized_stack, 0
	.set _ZL19rocblas_tbsv_kernelILb0ELi512EPKPK19rocblas_complex_numIdEPKPS1_Ev18rocblas_operation_bbiiT1_lllT2_lll.has_recursion, 0
	.set _ZL19rocblas_tbsv_kernelILb0ELi512EPKPK19rocblas_complex_numIdEPKPS1_Ev18rocblas_operation_bbiiT1_lllT2_lll.has_indirect_call, 0
	.section	.AMDGPU.csdata,"",@progbits
; Kernel info:
; codeLenInByte = 7728
; TotalNumSgprs: 74
; NumVgprs: 30
; ScratchSize: 0
; MemoryBound: 0
; FloatMode: 240
; IeeeMode: 1
; LDSByteSize: 32768 bytes/workgroup (compile time only)
; SGPRBlocks: 12
; VGPRBlocks: 12
; NumSGPRsForWavesPerEU: 102
; NumVGPRsForWavesPerEU: 49
; Occupancy: 4
; WaveLimiterHint : 1
; COMPUTE_PGM_RSRC2:SCRATCH_EN: 0
; COMPUTE_PGM_RSRC2:USER_SGPR: 6
; COMPUTE_PGM_RSRC2:TRAP_HANDLER: 0
; COMPUTE_PGM_RSRC2:TGID_X_EN: 1
; COMPUTE_PGM_RSRC2:TGID_Y_EN: 0
; COMPUTE_PGM_RSRC2:TGID_Z_EN: 0
; COMPUTE_PGM_RSRC2:TIDIG_COMP_CNT: 0
	.section	.AMDGPU.gpr_maximums,"",@progbits
	.set amdgpu.max_num_vgpr, 0
	.set amdgpu.max_num_agpr, 0
	.set amdgpu.max_num_sgpr, 0
	.section	.AMDGPU.csdata,"",@progbits
	.type	__hip_cuid_e7d08e84d3a20ef4,@object ; @__hip_cuid_e7d08e84d3a20ef4
	.section	.bss,"aw",@nobits
	.globl	__hip_cuid_e7d08e84d3a20ef4
__hip_cuid_e7d08e84d3a20ef4:
	.byte	0                               ; 0x0
	.size	__hip_cuid_e7d08e84d3a20ef4, 1

	.ident	"AMD clang version 22.0.0git (https://github.com/RadeonOpenCompute/llvm-project roc-7.2.4 26084 f58b06dce1f9c15707c5f808fd002e18c2accf7e)"
	.section	".note.GNU-stack","",@progbits
	.addrsig
	.addrsig_sym __hip_cuid_e7d08e84d3a20ef4
	.amdgpu_metadata
---
amdhsa.kernels:
  - .args:
      - .offset:         0
        .size:           4
        .value_kind:     by_value
      - .offset:         4
        .size:           1
        .value_kind:     by_value
      - .offset:         5
        .size:           1
        .value_kind:     by_value
      - .offset:         8
        .size:           4
        .value_kind:     by_value
      - .offset:         12
        .size:           4
        .value_kind:     by_value
      - .address_space:  global
        .offset:         16
        .size:           8
        .value_kind:     global_buffer
      - .offset:         24
        .size:           8
        .value_kind:     by_value
      - .offset:         32
        .size:           8
        .value_kind:     by_value
      - .offset:         40
        .size:           8
        .value_kind:     by_value
      - .address_space:  global
        .offset:         48
        .size:           8
        .value_kind:     global_buffer
      - .offset:         56
        .size:           8
        .value_kind:     by_value
      - .offset:         64
        .size:           8
        .value_kind:     by_value
      - .offset:         72
        .size:           8
        .value_kind:     by_value
    .group_segment_fixed_size: 8192
    .kernarg_segment_align: 8
    .kernarg_segment_size: 80
    .language:       OpenCL C
    .language_version:
      - 2
      - 0
    .max_flat_workgroup_size: 512
    .name:           _ZL19rocblas_tbsv_kernelILb1ELi512EPKfPfEv18rocblas_operation_bbiiT1_lllT2_lll
    .private_segment_fixed_size: 0
    .sgpr_count:     72
    .sgpr_spill_count: 0
    .symbol:         _ZL19rocblas_tbsv_kernelILb1ELi512EPKfPfEv18rocblas_operation_bbiiT1_lllT2_lll.kd
    .uniform_work_group_size: 1
    .uses_dynamic_stack: false
    .vgpr_count:     24
    .vgpr_spill_count: 0
    .wavefront_size: 64
  - .args:
      - .offset:         0
        .size:           4
        .value_kind:     by_value
      - .offset:         4
        .size:           1
        .value_kind:     by_value
      - .offset:         5
        .size:           1
        .value_kind:     by_value
      - .offset:         8
        .size:           4
        .value_kind:     by_value
      - .offset:         12
        .size:           4
        .value_kind:     by_value
      - .address_space:  global
        .offset:         16
        .size:           8
        .value_kind:     global_buffer
      - .offset:         24
        .size:           8
        .value_kind:     by_value
      - .offset:         32
        .size:           8
        .value_kind:     by_value
      - .offset:         40
        .size:           8
        .value_kind:     by_value
      - .address_space:  global
        .offset:         48
        .size:           8
        .value_kind:     global_buffer
      - .offset:         56
        .size:           8
        .value_kind:     by_value
      - .offset:         64
        .size:           8
        .value_kind:     by_value
      - .offset:         72
        .size:           8
        .value_kind:     by_value
    .group_segment_fixed_size: 8192
    .kernarg_segment_align: 8
    .kernarg_segment_size: 80
    .language:       OpenCL C
    .language_version:
      - 2
      - 0
    .max_flat_workgroup_size: 512
    .name:           _ZL19rocblas_tbsv_kernelILb0ELi512EPKfPfEv18rocblas_operation_bbiiT1_lllT2_lll
    .private_segment_fixed_size: 0
    .sgpr_count:     72
    .sgpr_spill_count: 0
    .symbol:         _ZL19rocblas_tbsv_kernelILb0ELi512EPKfPfEv18rocblas_operation_bbiiT1_lllT2_lll.kd
    .uniform_work_group_size: 1
    .uses_dynamic_stack: false
    .vgpr_count:     24
    .vgpr_spill_count: 0
    .wavefront_size: 64
  - .args:
      - .offset:         0
        .size:           4
        .value_kind:     by_value
      - .offset:         4
        .size:           1
        .value_kind:     by_value
      - .offset:         5
        .size:           1
        .value_kind:     by_value
      - .offset:         8
        .size:           4
        .value_kind:     by_value
      - .offset:         12
        .size:           4
        .value_kind:     by_value
      - .address_space:  global
        .offset:         16
        .size:           8
        .value_kind:     global_buffer
      - .offset:         24
        .size:           8
        .value_kind:     by_value
      - .offset:         32
        .size:           8
        .value_kind:     by_value
      - .offset:         40
        .size:           8
        .value_kind:     by_value
      - .address_space:  global
        .offset:         48
        .size:           8
        .value_kind:     global_buffer
      - .offset:         56
        .size:           8
        .value_kind:     by_value
      - .offset:         64
        .size:           8
        .value_kind:     by_value
      - .offset:         72
        .size:           8
        .value_kind:     by_value
    .group_segment_fixed_size: 16384
    .kernarg_segment_align: 8
    .kernarg_segment_size: 80
    .language:       OpenCL C
    .language_version:
      - 2
      - 0
    .max_flat_workgroup_size: 512
    .name:           _ZL19rocblas_tbsv_kernelILb1ELi512EPKdPdEv18rocblas_operation_bbiiT1_lllT2_lll
    .private_segment_fixed_size: 0
    .sgpr_count:     72
    .sgpr_spill_count: 0
    .symbol:         _ZL19rocblas_tbsv_kernelILb1ELi512EPKdPdEv18rocblas_operation_bbiiT1_lllT2_lll.kd
    .uniform_work_group_size: 1
    .uses_dynamic_stack: false
    .vgpr_count:     26
    .vgpr_spill_count: 0
    .wavefront_size: 64
  - .args:
      - .offset:         0
        .size:           4
        .value_kind:     by_value
      - .offset:         4
        .size:           1
        .value_kind:     by_value
      - .offset:         5
        .size:           1
        .value_kind:     by_value
      - .offset:         8
        .size:           4
        .value_kind:     by_value
      - .offset:         12
        .size:           4
        .value_kind:     by_value
      - .address_space:  global
        .offset:         16
        .size:           8
        .value_kind:     global_buffer
      - .offset:         24
        .size:           8
        .value_kind:     by_value
      - .offset:         32
        .size:           8
        .value_kind:     by_value
      - .offset:         40
        .size:           8
        .value_kind:     by_value
      - .address_space:  global
        .offset:         48
        .size:           8
        .value_kind:     global_buffer
      - .offset:         56
        .size:           8
        .value_kind:     by_value
      - .offset:         64
        .size:           8
        .value_kind:     by_value
      - .offset:         72
        .size:           8
        .value_kind:     by_value
    .group_segment_fixed_size: 16384
    .kernarg_segment_align: 8
    .kernarg_segment_size: 80
    .language:       OpenCL C
    .language_version:
      - 2
      - 0
    .max_flat_workgroup_size: 512
    .name:           _ZL19rocblas_tbsv_kernelILb0ELi512EPKdPdEv18rocblas_operation_bbiiT1_lllT2_lll
    .private_segment_fixed_size: 0
    .sgpr_count:     72
    .sgpr_spill_count: 0
    .symbol:         _ZL19rocblas_tbsv_kernelILb0ELi512EPKdPdEv18rocblas_operation_bbiiT1_lllT2_lll.kd
    .uniform_work_group_size: 1
    .uses_dynamic_stack: false
    .vgpr_count:     26
    .vgpr_spill_count: 0
    .wavefront_size: 64
  - .args:
      - .offset:         0
        .size:           4
        .value_kind:     by_value
      - .offset:         4
        .size:           1
        .value_kind:     by_value
      - .offset:         5
        .size:           1
        .value_kind:     by_value
      - .offset:         8
        .size:           4
        .value_kind:     by_value
      - .offset:         12
        .size:           4
        .value_kind:     by_value
      - .address_space:  global
        .offset:         16
        .size:           8
        .value_kind:     global_buffer
      - .offset:         24
        .size:           8
        .value_kind:     by_value
      - .offset:         32
        .size:           8
        .value_kind:     by_value
      - .offset:         40
        .size:           8
        .value_kind:     by_value
      - .address_space:  global
        .offset:         48
        .size:           8
        .value_kind:     global_buffer
      - .offset:         56
        .size:           8
        .value_kind:     by_value
      - .offset:         64
        .size:           8
        .value_kind:     by_value
      - .offset:         72
        .size:           8
        .value_kind:     by_value
    .group_segment_fixed_size: 16384
    .kernarg_segment_align: 8
    .kernarg_segment_size: 80
    .language:       OpenCL C
    .language_version:
      - 2
      - 0
    .max_flat_workgroup_size: 512
    .name:           _ZL19rocblas_tbsv_kernelILb1ELi512EPK19rocblas_complex_numIfEPS1_Ev18rocblas_operation_bbiiT1_lllT2_lll
    .private_segment_fixed_size: 0
    .sgpr_count:     74
    .sgpr_spill_count: 0
    .symbol:         _ZL19rocblas_tbsv_kernelILb1ELi512EPK19rocblas_complex_numIfEPS1_Ev18rocblas_operation_bbiiT1_lllT2_lll.kd
    .uniform_work_group_size: 1
    .uses_dynamic_stack: false
    .vgpr_count:     25
    .vgpr_spill_count: 0
    .wavefront_size: 64
  - .args:
      - .offset:         0
        .size:           4
        .value_kind:     by_value
      - .offset:         4
        .size:           1
        .value_kind:     by_value
      - .offset:         5
        .size:           1
        .value_kind:     by_value
      - .offset:         8
        .size:           4
        .value_kind:     by_value
      - .offset:         12
        .size:           4
        .value_kind:     by_value
      - .address_space:  global
        .offset:         16
        .size:           8
        .value_kind:     global_buffer
      - .offset:         24
        .size:           8
        .value_kind:     by_value
      - .offset:         32
        .size:           8
        .value_kind:     by_value
      - .offset:         40
        .size:           8
        .value_kind:     by_value
      - .address_space:  global
        .offset:         48
        .size:           8
        .value_kind:     global_buffer
      - .offset:         56
        .size:           8
        .value_kind:     by_value
      - .offset:         64
        .size:           8
        .value_kind:     by_value
      - .offset:         72
        .size:           8
        .value_kind:     by_value
    .group_segment_fixed_size: 16384
    .kernarg_segment_align: 8
    .kernarg_segment_size: 80
    .language:       OpenCL C
    .language_version:
      - 2
      - 0
    .max_flat_workgroup_size: 512
    .name:           _ZL19rocblas_tbsv_kernelILb0ELi512EPK19rocblas_complex_numIfEPS1_Ev18rocblas_operation_bbiiT1_lllT2_lll
    .private_segment_fixed_size: 0
    .sgpr_count:     74
    .sgpr_spill_count: 0
    .symbol:         _ZL19rocblas_tbsv_kernelILb0ELi512EPK19rocblas_complex_numIfEPS1_Ev18rocblas_operation_bbiiT1_lllT2_lll.kd
    .uniform_work_group_size: 1
    .uses_dynamic_stack: false
    .vgpr_count:     24
    .vgpr_spill_count: 0
    .wavefront_size: 64
  - .args:
      - .offset:         0
        .size:           4
        .value_kind:     by_value
      - .offset:         4
        .size:           1
        .value_kind:     by_value
      - .offset:         5
        .size:           1
        .value_kind:     by_value
      - .offset:         8
        .size:           4
        .value_kind:     by_value
      - .offset:         12
        .size:           4
        .value_kind:     by_value
      - .address_space:  global
        .offset:         16
        .size:           8
        .value_kind:     global_buffer
      - .offset:         24
        .size:           8
        .value_kind:     by_value
      - .offset:         32
        .size:           8
        .value_kind:     by_value
      - .offset:         40
        .size:           8
        .value_kind:     by_value
      - .address_space:  global
        .offset:         48
        .size:           8
        .value_kind:     global_buffer
      - .offset:         56
        .size:           8
        .value_kind:     by_value
      - .offset:         64
        .size:           8
        .value_kind:     by_value
      - .offset:         72
        .size:           8
        .value_kind:     by_value
    .group_segment_fixed_size: 32768
    .kernarg_segment_align: 8
    .kernarg_segment_size: 80
    .language:       OpenCL C
    .language_version:
      - 2
      - 0
    .max_flat_workgroup_size: 512
    .name:           _ZL19rocblas_tbsv_kernelILb1ELi512EPK19rocblas_complex_numIdEPS1_Ev18rocblas_operation_bbiiT1_lllT2_lll
    .private_segment_fixed_size: 0
    .sgpr_count:     74
    .sgpr_spill_count: 0
    .symbol:         _ZL19rocblas_tbsv_kernelILb1ELi512EPK19rocblas_complex_numIdEPS1_Ev18rocblas_operation_bbiiT1_lllT2_lll.kd
    .uniform_work_group_size: 1
    .uses_dynamic_stack: false
    .vgpr_count:     33
    .vgpr_spill_count: 0
    .wavefront_size: 64
  - .args:
      - .offset:         0
        .size:           4
        .value_kind:     by_value
      - .offset:         4
        .size:           1
        .value_kind:     by_value
      - .offset:         5
        .size:           1
        .value_kind:     by_value
      - .offset:         8
        .size:           4
        .value_kind:     by_value
      - .offset:         12
        .size:           4
        .value_kind:     by_value
      - .address_space:  global
        .offset:         16
        .size:           8
        .value_kind:     global_buffer
      - .offset:         24
        .size:           8
        .value_kind:     by_value
      - .offset:         32
        .size:           8
        .value_kind:     by_value
      - .offset:         40
        .size:           8
        .value_kind:     by_value
      - .address_space:  global
        .offset:         48
        .size:           8
        .value_kind:     global_buffer
      - .offset:         56
        .size:           8
        .value_kind:     by_value
      - .offset:         64
        .size:           8
        .value_kind:     by_value
      - .offset:         72
        .size:           8
        .value_kind:     by_value
    .group_segment_fixed_size: 32768
    .kernarg_segment_align: 8
    .kernarg_segment_size: 80
    .language:       OpenCL C
    .language_version:
      - 2
      - 0
    .max_flat_workgroup_size: 512
    .name:           _ZL19rocblas_tbsv_kernelILb0ELi512EPK19rocblas_complex_numIdEPS1_Ev18rocblas_operation_bbiiT1_lllT2_lll
    .private_segment_fixed_size: 0
    .sgpr_count:     74
    .sgpr_spill_count: 0
    .symbol:         _ZL19rocblas_tbsv_kernelILb0ELi512EPK19rocblas_complex_numIdEPS1_Ev18rocblas_operation_bbiiT1_lllT2_lll.kd
    .uniform_work_group_size: 1
    .uses_dynamic_stack: false
    .vgpr_count:     33
    .vgpr_spill_count: 0
    .wavefront_size: 64
  - .args:
      - .offset:         0
        .size:           4
        .value_kind:     by_value
      - .offset:         4
        .size:           1
        .value_kind:     by_value
      - .offset:         5
        .size:           1
        .value_kind:     by_value
      - .offset:         8
        .size:           4
        .value_kind:     by_value
      - .offset:         12
        .size:           4
        .value_kind:     by_value
      - .address_space:  global
        .offset:         16
        .size:           8
        .value_kind:     global_buffer
      - .offset:         24
        .size:           8
        .value_kind:     by_value
      - .offset:         32
        .size:           8
        .value_kind:     by_value
      - .offset:         40
        .size:           8
        .value_kind:     by_value
      - .address_space:  global
        .offset:         48
        .size:           8
        .value_kind:     global_buffer
      - .offset:         56
        .size:           8
        .value_kind:     by_value
      - .offset:         64
        .size:           8
        .value_kind:     by_value
      - .offset:         72
        .size:           8
        .value_kind:     by_value
    .group_segment_fixed_size: 8192
    .kernarg_segment_align: 8
    .kernarg_segment_size: 80
    .language:       OpenCL C
    .language_version:
      - 2
      - 0
    .max_flat_workgroup_size: 512
    .name:           _ZL19rocblas_tbsv_kernelILb1ELi512EPKPKfPKPfEv18rocblas_operation_bbiiT1_lllT2_lll
    .private_segment_fixed_size: 0
    .sgpr_count:     72
    .sgpr_spill_count: 0
    .symbol:         _ZL19rocblas_tbsv_kernelILb1ELi512EPKPKfPKPfEv18rocblas_operation_bbiiT1_lllT2_lll.kd
    .uniform_work_group_size: 1
    .uses_dynamic_stack: false
    .vgpr_count:     23
    .vgpr_spill_count: 0
    .wavefront_size: 64
  - .args:
      - .offset:         0
        .size:           4
        .value_kind:     by_value
      - .offset:         4
        .size:           1
        .value_kind:     by_value
      - .offset:         5
        .size:           1
        .value_kind:     by_value
      - .offset:         8
        .size:           4
        .value_kind:     by_value
      - .offset:         12
        .size:           4
        .value_kind:     by_value
      - .address_space:  global
        .offset:         16
        .size:           8
        .value_kind:     global_buffer
      - .offset:         24
        .size:           8
        .value_kind:     by_value
      - .offset:         32
        .size:           8
        .value_kind:     by_value
      - .offset:         40
        .size:           8
        .value_kind:     by_value
      - .address_space:  global
        .offset:         48
        .size:           8
        .value_kind:     global_buffer
      - .offset:         56
        .size:           8
        .value_kind:     by_value
      - .offset:         64
        .size:           8
        .value_kind:     by_value
      - .offset:         72
        .size:           8
        .value_kind:     by_value
    .group_segment_fixed_size: 8192
    .kernarg_segment_align: 8
    .kernarg_segment_size: 80
    .language:       OpenCL C
    .language_version:
      - 2
      - 0
    .max_flat_workgroup_size: 512
    .name:           _ZL19rocblas_tbsv_kernelILb0ELi512EPKPKfPKPfEv18rocblas_operation_bbiiT1_lllT2_lll
    .private_segment_fixed_size: 0
    .sgpr_count:     72
    .sgpr_spill_count: 0
    .symbol:         _ZL19rocblas_tbsv_kernelILb0ELi512EPKPKfPKPfEv18rocblas_operation_bbiiT1_lllT2_lll.kd
    .uniform_work_group_size: 1
    .uses_dynamic_stack: false
    .vgpr_count:     23
    .vgpr_spill_count: 0
    .wavefront_size: 64
  - .args:
      - .offset:         0
        .size:           4
        .value_kind:     by_value
      - .offset:         4
        .size:           1
        .value_kind:     by_value
      - .offset:         5
        .size:           1
        .value_kind:     by_value
      - .offset:         8
        .size:           4
        .value_kind:     by_value
      - .offset:         12
        .size:           4
        .value_kind:     by_value
      - .address_space:  global
        .offset:         16
        .size:           8
        .value_kind:     global_buffer
      - .offset:         24
        .size:           8
        .value_kind:     by_value
      - .offset:         32
        .size:           8
        .value_kind:     by_value
      - .offset:         40
        .size:           8
        .value_kind:     by_value
      - .address_space:  global
        .offset:         48
        .size:           8
        .value_kind:     global_buffer
      - .offset:         56
        .size:           8
        .value_kind:     by_value
      - .offset:         64
        .size:           8
        .value_kind:     by_value
      - .offset:         72
        .size:           8
        .value_kind:     by_value
    .group_segment_fixed_size: 16384
    .kernarg_segment_align: 8
    .kernarg_segment_size: 80
    .language:       OpenCL C
    .language_version:
      - 2
      - 0
    .max_flat_workgroup_size: 512
    .name:           _ZL19rocblas_tbsv_kernelILb1ELi512EPKPKdPKPdEv18rocblas_operation_bbiiT1_lllT2_lll
    .private_segment_fixed_size: 0
    .sgpr_count:     72
    .sgpr_spill_count: 0
    .symbol:         _ZL19rocblas_tbsv_kernelILb1ELi512EPKPKdPKPdEv18rocblas_operation_bbiiT1_lllT2_lll.kd
    .uniform_work_group_size: 1
    .uses_dynamic_stack: false
    .vgpr_count:     26
    .vgpr_spill_count: 0
    .wavefront_size: 64
  - .args:
      - .offset:         0
        .size:           4
        .value_kind:     by_value
      - .offset:         4
        .size:           1
        .value_kind:     by_value
      - .offset:         5
        .size:           1
        .value_kind:     by_value
      - .offset:         8
        .size:           4
        .value_kind:     by_value
      - .offset:         12
        .size:           4
        .value_kind:     by_value
      - .address_space:  global
        .offset:         16
        .size:           8
        .value_kind:     global_buffer
      - .offset:         24
        .size:           8
        .value_kind:     by_value
      - .offset:         32
        .size:           8
        .value_kind:     by_value
      - .offset:         40
        .size:           8
        .value_kind:     by_value
      - .address_space:  global
        .offset:         48
        .size:           8
        .value_kind:     global_buffer
      - .offset:         56
        .size:           8
        .value_kind:     by_value
      - .offset:         64
        .size:           8
        .value_kind:     by_value
      - .offset:         72
        .size:           8
        .value_kind:     by_value
    .group_segment_fixed_size: 16384
    .kernarg_segment_align: 8
    .kernarg_segment_size: 80
    .language:       OpenCL C
    .language_version:
      - 2
      - 0
    .max_flat_workgroup_size: 512
    .name:           _ZL19rocblas_tbsv_kernelILb0ELi512EPKPKdPKPdEv18rocblas_operation_bbiiT1_lllT2_lll
    .private_segment_fixed_size: 0
    .sgpr_count:     72
    .sgpr_spill_count: 0
    .symbol:         _ZL19rocblas_tbsv_kernelILb0ELi512EPKPKdPKPdEv18rocblas_operation_bbiiT1_lllT2_lll.kd
    .uniform_work_group_size: 1
    .uses_dynamic_stack: false
    .vgpr_count:     26
    .vgpr_spill_count: 0
    .wavefront_size: 64
  - .args:
      - .offset:         0
        .size:           4
        .value_kind:     by_value
      - .offset:         4
        .size:           1
        .value_kind:     by_value
      - .offset:         5
        .size:           1
        .value_kind:     by_value
      - .offset:         8
        .size:           4
        .value_kind:     by_value
      - .offset:         12
        .size:           4
        .value_kind:     by_value
      - .address_space:  global
        .offset:         16
        .size:           8
        .value_kind:     global_buffer
      - .offset:         24
        .size:           8
        .value_kind:     by_value
      - .offset:         32
        .size:           8
        .value_kind:     by_value
      - .offset:         40
        .size:           8
        .value_kind:     by_value
      - .address_space:  global
        .offset:         48
        .size:           8
        .value_kind:     global_buffer
      - .offset:         56
        .size:           8
        .value_kind:     by_value
      - .offset:         64
        .size:           8
        .value_kind:     by_value
      - .offset:         72
        .size:           8
        .value_kind:     by_value
    .group_segment_fixed_size: 16384
    .kernarg_segment_align: 8
    .kernarg_segment_size: 80
    .language:       OpenCL C
    .language_version:
      - 2
      - 0
    .max_flat_workgroup_size: 512
    .name:           _ZL19rocblas_tbsv_kernelILb1ELi512EPKPK19rocblas_complex_numIfEPKPS1_Ev18rocblas_operation_bbiiT1_lllT2_lll
    .private_segment_fixed_size: 0
    .sgpr_count:     72
    .sgpr_spill_count: 0
    .symbol:         _ZL19rocblas_tbsv_kernelILb1ELi512EPKPK19rocblas_complex_numIfEPKPS1_Ev18rocblas_operation_bbiiT1_lllT2_lll.kd
    .uniform_work_group_size: 1
    .uses_dynamic_stack: false
    .vgpr_count:     25
    .vgpr_spill_count: 0
    .wavefront_size: 64
  - .args:
      - .offset:         0
        .size:           4
        .value_kind:     by_value
      - .offset:         4
        .size:           1
        .value_kind:     by_value
      - .offset:         5
        .size:           1
        .value_kind:     by_value
      - .offset:         8
        .size:           4
        .value_kind:     by_value
      - .offset:         12
        .size:           4
        .value_kind:     by_value
      - .address_space:  global
        .offset:         16
        .size:           8
        .value_kind:     global_buffer
      - .offset:         24
        .size:           8
        .value_kind:     by_value
      - .offset:         32
        .size:           8
        .value_kind:     by_value
      - .offset:         40
        .size:           8
        .value_kind:     by_value
      - .address_space:  global
        .offset:         48
        .size:           8
        .value_kind:     global_buffer
      - .offset:         56
        .size:           8
        .value_kind:     by_value
      - .offset:         64
        .size:           8
        .value_kind:     by_value
      - .offset:         72
        .size:           8
        .value_kind:     by_value
    .group_segment_fixed_size: 16384
    .kernarg_segment_align: 8
    .kernarg_segment_size: 80
    .language:       OpenCL C
    .language_version:
      - 2
      - 0
    .max_flat_workgroup_size: 512
    .name:           _ZL19rocblas_tbsv_kernelILb0ELi512EPKPK19rocblas_complex_numIfEPKPS1_Ev18rocblas_operation_bbiiT1_lllT2_lll
    .private_segment_fixed_size: 0
    .sgpr_count:     72
    .sgpr_spill_count: 0
    .symbol:         _ZL19rocblas_tbsv_kernelILb0ELi512EPKPK19rocblas_complex_numIfEPKPS1_Ev18rocblas_operation_bbiiT1_lllT2_lll.kd
    .uniform_work_group_size: 1
    .uses_dynamic_stack: false
    .vgpr_count:     23
    .vgpr_spill_count: 0
    .wavefront_size: 64
  - .args:
      - .offset:         0
        .size:           4
        .value_kind:     by_value
      - .offset:         4
        .size:           1
        .value_kind:     by_value
      - .offset:         5
        .size:           1
        .value_kind:     by_value
      - .offset:         8
        .size:           4
        .value_kind:     by_value
      - .offset:         12
        .size:           4
        .value_kind:     by_value
      - .address_space:  global
        .offset:         16
        .size:           8
        .value_kind:     global_buffer
      - .offset:         24
        .size:           8
        .value_kind:     by_value
      - .offset:         32
        .size:           8
        .value_kind:     by_value
      - .offset:         40
        .size:           8
        .value_kind:     by_value
      - .address_space:  global
        .offset:         48
        .size:           8
        .value_kind:     global_buffer
      - .offset:         56
        .size:           8
        .value_kind:     by_value
      - .offset:         64
        .size:           8
        .value_kind:     by_value
      - .offset:         72
        .size:           8
        .value_kind:     by_value
    .group_segment_fixed_size: 32768
    .kernarg_segment_align: 8
    .kernarg_segment_size: 80
    .language:       OpenCL C
    .language_version:
      - 2
      - 0
    .max_flat_workgroup_size: 512
    .name:           _ZL19rocblas_tbsv_kernelILb1ELi512EPKPK19rocblas_complex_numIdEPKPS1_Ev18rocblas_operation_bbiiT1_lllT2_lll
    .private_segment_fixed_size: 0
    .sgpr_count:     74
    .sgpr_spill_count: 0
    .symbol:         _ZL19rocblas_tbsv_kernelILb1ELi512EPKPK19rocblas_complex_numIdEPKPS1_Ev18rocblas_operation_bbiiT1_lllT2_lll.kd
    .uniform_work_group_size: 1
    .uses_dynamic_stack: false
    .vgpr_count:     30
    .vgpr_spill_count: 0
    .wavefront_size: 64
  - .args:
      - .offset:         0
        .size:           4
        .value_kind:     by_value
      - .offset:         4
        .size:           1
        .value_kind:     by_value
      - .offset:         5
        .size:           1
        .value_kind:     by_value
      - .offset:         8
        .size:           4
        .value_kind:     by_value
      - .offset:         12
        .size:           4
        .value_kind:     by_value
      - .address_space:  global
        .offset:         16
        .size:           8
        .value_kind:     global_buffer
      - .offset:         24
        .size:           8
        .value_kind:     by_value
      - .offset:         32
        .size:           8
        .value_kind:     by_value
      - .offset:         40
        .size:           8
        .value_kind:     by_value
      - .address_space:  global
        .offset:         48
        .size:           8
        .value_kind:     global_buffer
      - .offset:         56
        .size:           8
        .value_kind:     by_value
      - .offset:         64
        .size:           8
        .value_kind:     by_value
      - .offset:         72
        .size:           8
        .value_kind:     by_value
    .group_segment_fixed_size: 32768
    .kernarg_segment_align: 8
    .kernarg_segment_size: 80
    .language:       OpenCL C
    .language_version:
      - 2
      - 0
    .max_flat_workgroup_size: 512
    .name:           _ZL19rocblas_tbsv_kernelILb0ELi512EPKPK19rocblas_complex_numIdEPKPS1_Ev18rocblas_operation_bbiiT1_lllT2_lll
    .private_segment_fixed_size: 0
    .sgpr_count:     74
    .sgpr_spill_count: 0
    .symbol:         _ZL19rocblas_tbsv_kernelILb0ELi512EPKPK19rocblas_complex_numIdEPKPS1_Ev18rocblas_operation_bbiiT1_lllT2_lll.kd
    .uniform_work_group_size: 1
    .uses_dynamic_stack: false
    .vgpr_count:     30
    .vgpr_spill_count: 0
    .wavefront_size: 64
amdhsa.target:   amdgcn-amd-amdhsa--gfx906
amdhsa.version:
  - 1
  - 2
...

	.end_amdgpu_metadata
